;; amdgpu-corpus repo=zjin-lcf/HeCBench kind=compiled arch=gfx1250 opt=O3
	.amdgcn_target "amdgcn-amd-amdhsa--gfx1250"
	.amdhsa_code_object_version 6
	.text
	.protected	_Z26compute_haversine_distancePK15HIP_vector_typeIdLj4EEPdi ; -- Begin function _Z26compute_haversine_distancePK15HIP_vector_typeIdLj4EEPdi
	.globl	_Z26compute_haversine_distancePK15HIP_vector_typeIdLj4EEPdi
	.p2align	8
	.type	_Z26compute_haversine_distancePK15HIP_vector_typeIdLj4EEPdi,@function
_Z26compute_haversine_distancePK15HIP_vector_typeIdLj4EEPdi: ; @_Z26compute_haversine_distancePK15HIP_vector_typeIdLj4EEPdi
; %bb.0:
	s_clause 0x1
	s_load_b32 s2, s[0:1], 0x24
	s_load_b32 s3, s[0:1], 0x10
	s_bfe_u32 s4, ttmp6, 0x4000c
	s_and_b32 s5, ttmp6, 15
	s_add_co_i32 s4, s4, 1
	s_getreg_b32 s6, hwreg(HW_REG_IB_STS2, 6, 4)
	s_mul_i32 s4, ttmp9, s4
	s_delay_alu instid0(SALU_CYCLE_1) | instskip(SKIP_4) | instid1(SALU_CYCLE_1)
	s_add_co_i32 s5, s5, s4
	s_wait_kmcnt 0x0
	s_and_b32 s2, s2, 0xffff
	s_cmp_eq_u32 s6, 0
	s_cselect_b32 s4, ttmp9, s5
	v_mad_u32 v8, s4, s2, v0
	s_mov_b32 s2, exec_lo
	s_delay_alu instid0(VALU_DEP_1)
	v_cmpx_gt_i32_e64 s3, v8
	s_cbranch_execz .LBB0_28
; %bb.1:
	s_load_b64 s[2:3], s[0:1], 0x0
	v_ashrrev_i32_e32 v9, 31, v8
                                        ; implicit-def: $vgpr52
	s_delay_alu instid0(VALU_DEP_1) | instskip(SKIP_1) | instid1(VALU_DEP_1)
	v_lshlrev_b64_e32 v[0:1], 5, v[8:9]
	s_wait_kmcnt 0x0
	v_add_nc_u64_e32 v[10:11], s[2:3], v[0:1]
	s_clause 0x1
	global_load_b128 v[4:7], v[10:11], off
	global_load_b128 v[0:3], v[10:11], off offset:16
	s_wait_loadcnt 0x1
	v_mul_f64_e32 v[4:5], 0x400921fb54442d18, v[4:5]
	s_wait_loadcnt 0x0
	v_mul_f64_e32 v[0:1], 0x400921fb54442d18, v[0:1]
	s_delay_alu instid0(VALU_DEP_2) | instskip(NEXT) | instid1(VALU_DEP_2)
	v_div_scale_f64 v[10:11], null, 0x40668000, 0x40668000, v[4:5]
	v_div_scale_f64 v[12:13], null, 0x40668000, 0x40668000, v[0:1]
	v_div_scale_f64 v[22:23], vcc_lo, v[4:5], 0x40668000, v[4:5]
	s_delay_alu instid0(VALU_DEP_3) | instskip(NEXT) | instid1(VALU_DEP_2)
	v_rcp_f64_e32 v[14:15], v[10:11]
	v_rcp_f64_e32 v[16:17], v[12:13]
	s_delay_alu instid0(TRANS32_DEP_2) | instskip(NEXT) | instid1(TRANS32_DEP_1)
	v_fma_f64 v[18:19], -v[10:11], v[14:15], 1.0
	v_fma_f64 v[20:21], -v[12:13], v[16:17], 1.0
	s_delay_alu instid0(VALU_DEP_2) | instskip(NEXT) | instid1(VALU_DEP_2)
	v_fmac_f64_e32 v[14:15], v[14:15], v[18:19]
	v_fmac_f64_e32 v[16:17], v[16:17], v[20:21]
	s_delay_alu instid0(VALU_DEP_2) | instskip(NEXT) | instid1(VALU_DEP_2)
	v_fma_f64 v[18:19], -v[10:11], v[14:15], 1.0
	v_fma_f64 v[20:21], -v[12:13], v[16:17], 1.0
	s_delay_alu instid0(VALU_DEP_2) | instskip(SKIP_1) | instid1(VALU_DEP_3)
	v_fmac_f64_e32 v[14:15], v[14:15], v[18:19]
	v_div_scale_f64 v[18:19], s2, v[0:1], 0x40668000, v[0:1]
	v_fmac_f64_e32 v[16:17], v[16:17], v[20:21]
	s_delay_alu instid0(VALU_DEP_3) | instskip(NEXT) | instid1(VALU_DEP_2)
	v_mul_f64_e32 v[20:21], v[22:23], v[14:15]
	v_mul_f64_e32 v[24:25], v[18:19], v[16:17]
	s_delay_alu instid0(VALU_DEP_2) | instskip(NEXT) | instid1(VALU_DEP_2)
	v_fma_f64 v[10:11], -v[10:11], v[20:21], v[22:23]
	v_fma_f64 v[12:13], -v[12:13], v[24:25], v[18:19]
	s_delay_alu instid0(VALU_DEP_2) | instskip(SKIP_1) | instid1(VALU_DEP_2)
	v_div_fmas_f64 v[10:11], v[10:11], v[14:15], v[20:21]
	s_mov_b32 vcc_lo, s2
	v_div_fmas_f64 v[12:13], v[12:13], v[16:17], v[24:25]
	s_delay_alu instid0(VALU_DEP_2) | instskip(NEXT) | instid1(VALU_DEP_2)
	v_div_fixup_f64 v[18:19], v[10:11], 0x40668000, v[4:5]
                                        ; implicit-def: $vgpr10_vgpr11
	v_div_fixup_f64 v[0:1], v[12:13], 0x40668000, v[0:1]
                                        ; implicit-def: $vgpr12_vgpr13
	s_delay_alu instid0(VALU_DEP_1) | instskip(NEXT) | instid1(VALU_DEP_1)
	v_add_f64_e64 v[4:5], v[0:1], -v[18:19]
	v_mul_f64_e32 v[4:5], 0.5, v[4:5]
	s_delay_alu instid0(VALU_DEP_1)
	v_cmp_ngt_f64_e64 s2, 0x41d00000, |v[4:5]|
	v_trig_preop_f64 v[24:25], |v[4:5]|, 0
	v_trig_preop_f64 v[22:23], |v[4:5]|, 1
	v_ldexp_f64 v[26:27], |v[4:5]|, 0xffffff80
	v_trig_preop_f64 v[20:21], |v[4:5]|, 2
	v_and_b32_e32 v28, 0x7fffffff, v5
	s_and_saveexec_b32 s3, s2
	s_delay_alu instid0(SALU_CYCLE_1)
	s_xor_b32 s3, exec_lo, s3
	s_cbranch_execz .LBB0_3
; %bb.2:
	v_cmp_le_f64_e64 vcc_lo, 0x7b000000, |v[4:5]|
	s_mov_b64 s[4:5], 0x3ff921fb54442d18
	v_dual_mov_b32 v42, 0 :: v_dual_cndmask_b32 v11, v28, v27
	v_cndmask_b32_e32 v10, v4, v26, vcc_lo
	s_delay_alu instid0(VALU_DEP_1) | instskip(SKIP_1) | instid1(VALU_DEP_2)
	v_mul_f64_e32 v[12:13], v[24:25], v[10:11]
	v_mul_f64_e32 v[14:15], v[22:23], v[10:11]
	v_fma_f64 v[16:17], v[24:25], v[10:11], -v[12:13]
	s_delay_alu instid0(VALU_DEP_1) | instskip(NEXT) | instid1(VALU_DEP_1)
	v_add_f64_e32 v[30:31], v[14:15], v[16:17]
	v_add_f64_e64 v[32:33], v[30:31], -v[14:15]
	v_add_f64_e32 v[36:37], v[12:13], v[30:31]
	s_delay_alu instid0(VALU_DEP_2) | instskip(SKIP_2) | instid1(VALU_DEP_4)
	v_add_f64_e64 v[34:35], v[30:31], -v[32:33]
	v_fma_f64 v[40:41], v[22:23], v[10:11], -v[14:15]
	v_add_f64_e64 v[16:17], v[16:17], -v[32:33]
	v_ldexp_f64 v[32:33], v[36:37], -2
	v_mul_f64_e32 v[38:39], v[20:21], v[10:11]
	v_add_f64_e64 v[14:15], v[14:15], -v[34:35]
	s_delay_alu instid0(VALU_DEP_3) | instskip(NEXT) | instid1(VALU_DEP_3)
	v_cmp_neq_f64_e64 vcc_lo, 0x7ff00000, |v[32:33]|
	v_add_f64_e32 v[34:35], v[38:39], v[40:41]
	v_fma_f64 v[10:11], v[20:21], v[10:11], -v[38:39]
	s_delay_alu instid0(VALU_DEP_4) | instskip(SKIP_1) | instid1(VALU_DEP_1)
	v_add_f64_e32 v[14:15], v[16:17], v[14:15]
	v_fract_f64_e32 v[16:17], v[32:33]
	v_ldexp_f64 v[16:17], v[16:17], 2
	s_delay_alu instid0(VALU_DEP_1) | instskip(SKIP_1) | instid1(VALU_DEP_3)
	v_cndmask_b32_e32 v17, 0, v17, vcc_lo
	v_add_f64_e64 v[12:13], v[36:37], -v[12:13]
	v_cndmask_b32_e32 v16, 0, v16, vcc_lo
	s_delay_alu instid0(VALU_DEP_2) | instskip(SKIP_1) | instid1(VALU_DEP_1)
	v_add_f64_e64 v[12:13], v[30:31], -v[12:13]
	v_add_f64_e32 v[30:31], v[34:35], v[14:15]
	v_add_f64_e32 v[32:33], v[12:13], v[30:31]
	v_add_f64_e64 v[44:45], v[30:31], -v[34:35]
	s_delay_alu instid0(VALU_DEP_2) | instskip(NEXT) | instid1(VALU_DEP_2)
	v_add_f64_e32 v[36:37], v[32:33], v[16:17]
	v_add_f64_e64 v[50:51], v[30:31], -v[44:45]
	v_add_f64_e64 v[14:15], v[14:15], -v[44:45]
	;; [unrolled: 1-line block ×3, first 2 shown]
	s_delay_alu instid0(VALU_DEP_4) | instskip(SKIP_1) | instid1(VALU_DEP_3)
	v_cmp_gt_f64_e32 vcc_lo, 0, v[36:37]
	v_add_f64_e64 v[36:37], v[34:35], -v[38:39]
	v_add_f64_e64 v[12:13], v[30:31], -v[12:13]
	v_cndmask_b32_e64 v43, 0, 0x40100000, vcc_lo
	s_delay_alu instid0(VALU_DEP_3) | instskip(SKIP_2) | instid1(VALU_DEP_4)
	v_add_f64_e64 v[48:49], v[34:35], -v[36:37]
	v_add_f64_e64 v[36:37], v[40:41], -v[36:37]
	;; [unrolled: 1-line block ×3, first 2 shown]
	v_add_f64_e32 v[16:17], v[16:17], v[42:43]
	s_delay_alu instid0(VALU_DEP_4) | instskip(NEXT) | instid1(VALU_DEP_3)
	v_add_f64_e64 v[40:41], v[38:39], -v[48:49]
	v_add_f64_e32 v[14:15], v[14:15], v[34:35]
	s_delay_alu instid0(VALU_DEP_3) | instskip(NEXT) | instid1(VALU_DEP_3)
	v_add_f64_e32 v[46:47], v[32:33], v[16:17]
	v_add_f64_e32 v[36:37], v[36:37], v[40:41]
	s_delay_alu instid0(VALU_DEP_2) | instskip(NEXT) | instid1(VALU_DEP_2)
	v_cvt_i32_f64_e32 v29, v[46:47]
	v_add_f64_e32 v[14:15], v[36:37], v[14:15]
	s_delay_alu instid0(VALU_DEP_2) | instskip(NEXT) | instid1(VALU_DEP_2)
	v_cvt_f64_i32_e32 v[44:45], v29
	v_add_f64_e32 v[10:11], v[10:11], v[14:15]
	s_delay_alu instid0(VALU_DEP_2) | instskip(NEXT) | instid1(VALU_DEP_2)
	v_add_f64_e64 v[16:17], v[16:17], -v[44:45]
	v_add_f64_e32 v[10:11], v[12:13], v[10:11]
	s_delay_alu instid0(VALU_DEP_2) | instskip(NEXT) | instid1(VALU_DEP_1)
	v_add_f64_e32 v[34:35], v[32:33], v[16:17]
	v_add_f64_e64 v[14:15], v[34:35], -v[16:17]
	v_cmp_le_f64_e32 vcc_lo, 0.5, v[34:35]
	s_delay_alu instid0(VALU_DEP_2) | instskip(SKIP_2) | instid1(VALU_DEP_3)
	v_add_f64_e64 v[12:13], v[32:33], -v[14:15]
	v_cndmask_b32_e64 v43, 0, 0x3ff00000, vcc_lo
	v_add_co_ci_u32_e64 v52, null, 0, v29, vcc_lo
	v_add_f64_e32 v[10:11], v[10:11], v[12:13]
	s_delay_alu instid0(VALU_DEP_3) | instskip(NEXT) | instid1(VALU_DEP_1)
	v_add_f64_e64 v[12:13], v[34:35], -v[42:43]
	v_add_f64_e32 v[14:15], v[12:13], v[10:11]
	s_delay_alu instid0(VALU_DEP_1) | instskip(SKIP_1) | instid1(VALU_DEP_2)
	v_mul_f64_e32 v[16:17], 0x3ff921fb54442d18, v[14:15]
	v_add_f64_e64 v[12:13], v[14:15], -v[12:13]
	v_fma_f64 v[30:31], v[14:15], s[4:5], -v[16:17]
	s_delay_alu instid0(VALU_DEP_2) | instskip(NEXT) | instid1(VALU_DEP_2)
	v_add_f64_e64 v[10:11], v[10:11], -v[12:13]
	v_fmamk_f64 v[12:13], v[14:15], 0x3c91a62633145c07, v[30:31]
	s_delay_alu instid0(VALU_DEP_1) | instskip(NEXT) | instid1(VALU_DEP_1)
	v_fmac_f64_e32 v[12:13], 0x3ff921fb54442d18, v[10:11]
	v_add_f64_e32 v[10:11], v[16:17], v[12:13]
	s_delay_alu instid0(VALU_DEP_1) | instskip(NEXT) | instid1(VALU_DEP_1)
	v_add_f64_e64 v[14:15], v[10:11], -v[16:17]
	v_add_f64_e64 v[12:13], v[12:13], -v[14:15]
	s_and_not1_saveexec_b32 s3, s3
	s_cbranch_execz .LBB0_5
	s_branch .LBB0_4
.LBB0_3:
	s_and_not1_saveexec_b32 s3, s3
	s_cbranch_execz .LBB0_5
.LBB0_4:
	s_mov_b64 s[4:5], 0x3fe45f306dc9c883
	s_delay_alu instid0(SALU_CYCLE_1) | instskip(SKIP_1) | instid1(VALU_DEP_1)
	v_mul_f64_e64 v[10:11], |v[4:5]|, s[4:5]
	s_mov_b64 s[4:5], 0xbff921fb54442d18
	v_rndne_f64_e32 v[14:15], v[10:11]
	s_delay_alu instid0(VALU_DEP_1) | instskip(SKIP_2) | instid1(VALU_DEP_3)
	v_fma_f64 v[10:11], v[14:15], s[4:5], |v[4:5]|
	v_mul_f64_e32 v[12:13], 0xbc91a62633145c00, v[14:15]
	v_cvt_i32_f64_e32 v52, v[14:15]
	v_fmamk_f64 v[32:33], v[14:15], 0xbc91a62633145c00, v[10:11]
	s_delay_alu instid0(VALU_DEP_3) | instskip(NEXT) | instid1(VALU_DEP_1)
	v_add_f64_e32 v[16:17], v[10:11], v[12:13]
	v_add_f64_e64 v[30:31], v[10:11], -v[16:17]
	s_delay_alu instid0(VALU_DEP_3) | instskip(NEXT) | instid1(VALU_DEP_2)
	v_add_f64_e64 v[10:11], v[16:17], -v[32:33]
	v_add_f64_e32 v[16:17], v[30:31], v[12:13]
	v_fmamk_f64 v[12:13], v[14:15], 0x3c91a62633145c00, v[12:13]
	s_delay_alu instid0(VALU_DEP_2) | instskip(NEXT) | instid1(VALU_DEP_1)
	v_add_f64_e32 v[10:11], v[10:11], v[16:17]
	v_add_f64_e64 v[10:11], v[10:11], -v[12:13]
	s_delay_alu instid0(VALU_DEP_1) | instskip(NEXT) | instid1(VALU_DEP_1)
	v_fmamk_f64 v[12:13], v[14:15], 0xb97b839a252049c0, v[10:11]
	v_add_f64_e32 v[10:11], v[32:33], v[12:13]
	s_delay_alu instid0(VALU_DEP_1) | instskip(NEXT) | instid1(VALU_DEP_1)
	v_add_f64_e64 v[16:17], v[10:11], -v[32:33]
	v_add_f64_e64 v[12:13], v[12:13], -v[16:17]
.LBB0_5:
	s_or_b32 exec_lo, exec_lo, s3
                                        ; implicit-def: $vgpr53
                                        ; implicit-def: $vgpr14_vgpr15
                                        ; implicit-def: $vgpr16_vgpr17
	s_and_saveexec_b32 s3, s2
	s_delay_alu instid0(SALU_CYCLE_1)
	s_xor_b32 s2, exec_lo, s3
	s_cbranch_execz .LBB0_7
; %bb.6:
	v_cmp_le_f64_e64 vcc_lo, 0x7b000000, |v[4:5]|
	s_mov_b64 s[4:5], 0x3ff921fb54442d18
	v_dual_mov_b32 v38, 0 :: v_dual_cndmask_b32 v15, v28, v27
	v_cndmask_b32_e32 v14, v4, v26, vcc_lo
	s_delay_alu instid0(VALU_DEP_1) | instskip(SKIP_1) | instid1(VALU_DEP_2)
	v_mul_f64_e32 v[16:17], v[24:25], v[14:15]
	v_mul_f64_e32 v[26:27], v[22:23], v[14:15]
	v_fma_f64 v[24:25], v[24:25], v[14:15], -v[16:17]
	s_delay_alu instid0(VALU_DEP_1) | instskip(SKIP_1) | instid1(VALU_DEP_2)
	v_add_f64_e32 v[28:29], v[26:27], v[24:25]
	v_fma_f64 v[22:23], v[22:23], v[14:15], -v[26:27]
	v_add_f64_e64 v[30:31], v[28:29], -v[26:27]
	v_add_f64_e32 v[34:35], v[16:17], v[28:29]
	s_delay_alu instid0(VALU_DEP_2) | instskip(SKIP_1) | instid1(VALU_DEP_3)
	v_add_f64_e64 v[32:33], v[28:29], -v[30:31]
	v_add_f64_e64 v[24:25], v[24:25], -v[30:31]
	v_ldexp_f64 v[30:31], v[34:35], -2
	s_delay_alu instid0(VALU_DEP_3) | instskip(SKIP_1) | instid1(VALU_DEP_3)
	v_add_f64_e64 v[26:27], v[26:27], -v[32:33]
	v_mul_f64_e32 v[36:37], v[20:21], v[14:15]
	v_cmp_neq_f64_e64 vcc_lo, 0x7ff00000, |v[30:31]|
	s_delay_alu instid0(VALU_DEP_3) | instskip(SKIP_1) | instid1(VALU_DEP_4)
	v_add_f64_e32 v[24:25], v[24:25], v[26:27]
	v_fract_f64_e32 v[26:27], v[30:31]
	v_add_f64_e32 v[32:33], v[36:37], v[22:23]
	v_fma_f64 v[14:15], v[20:21], v[14:15], -v[36:37]
	s_delay_alu instid0(VALU_DEP_3) | instskip(NEXT) | instid1(VALU_DEP_1)
	v_ldexp_f64 v[26:27], v[26:27], 2
	v_dual_add_f64 v[16:17], v[34:35], -v[16:17] :: v_dual_cndmask_b32 v27, 0, v27, vcc_lo
	s_delay_alu instid0(VALU_DEP_1) | instskip(SKIP_1) | instid1(VALU_DEP_1)
	v_dual_add_f64 v[16:17], v[28:29], -v[16:17] :: v_dual_cndmask_b32 v26, 0, v26, vcc_lo
	v_add_f64_e32 v[28:29], v[32:33], v[24:25]
	v_add_f64_e32 v[30:31], v[16:17], v[28:29]
	v_add_f64_e64 v[40:41], v[28:29], -v[32:33]
	s_delay_alu instid0(VALU_DEP_2) | instskip(NEXT) | instid1(VALU_DEP_2)
	v_add_f64_e32 v[34:35], v[30:31], v[26:27]
	v_add_f64_e64 v[46:47], v[28:29], -v[40:41]
	v_add_f64_e64 v[24:25], v[24:25], -v[40:41]
	;; [unrolled: 1-line block ×3, first 2 shown]
	s_delay_alu instid0(VALU_DEP_4) | instskip(SKIP_1) | instid1(VALU_DEP_3)
	v_cmp_gt_f64_e32 vcc_lo, 0, v[34:35]
	v_add_f64_e64 v[34:35], v[32:33], -v[36:37]
	v_add_f64_e64 v[16:17], v[28:29], -v[16:17]
	v_cndmask_b32_e64 v39, 0, 0x40100000, vcc_lo
	s_delay_alu instid0(VALU_DEP_3) | instskip(SKIP_2) | instid1(VALU_DEP_4)
	v_add_f64_e64 v[44:45], v[32:33], -v[34:35]
	v_add_f64_e64 v[22:23], v[22:23], -v[34:35]
	;; [unrolled: 1-line block ×3, first 2 shown]
	v_add_f64_e32 v[26:27], v[26:27], v[38:39]
	s_delay_alu instid0(VALU_DEP_4) | instskip(NEXT) | instid1(VALU_DEP_3)
	v_add_f64_e64 v[34:35], v[36:37], -v[44:45]
	v_add_f64_e32 v[24:25], v[24:25], v[32:33]
	s_delay_alu instid0(VALU_DEP_3) | instskip(NEXT) | instid1(VALU_DEP_3)
	v_add_f64_e32 v[42:43], v[30:31], v[26:27]
	v_add_f64_e32 v[22:23], v[22:23], v[34:35]
	s_delay_alu instid0(VALU_DEP_2) | instskip(NEXT) | instid1(VALU_DEP_2)
	v_cvt_i32_f64_e32 v39, v[42:43]
	v_add_f64_e32 v[20:21], v[22:23], v[24:25]
	s_delay_alu instid0(VALU_DEP_2) | instskip(NEXT) | instid1(VALU_DEP_2)
	v_cvt_f64_i32_e32 v[40:41], v39
	v_add_f64_e32 v[14:15], v[14:15], v[20:21]
	s_delay_alu instid0(VALU_DEP_2) | instskip(NEXT) | instid1(VALU_DEP_2)
	v_add_f64_e64 v[26:27], v[26:27], -v[40:41]
	v_add_f64_e32 v[14:15], v[16:17], v[14:15]
	s_delay_alu instid0(VALU_DEP_2) | instskip(NEXT) | instid1(VALU_DEP_1)
	v_add_f64_e32 v[22:23], v[30:31], v[26:27]
	v_add_f64_e64 v[20:21], v[22:23], -v[26:27]
	v_cmp_le_f64_e32 vcc_lo, 0.5, v[22:23]
	s_delay_alu instid0(VALU_DEP_2) | instskip(SKIP_2) | instid1(VALU_DEP_3)
	v_add_f64_e64 v[16:17], v[30:31], -v[20:21]
	v_add_co_ci_u32_e64 v53, null, 0, v39, vcc_lo
	v_cndmask_b32_e64 v39, 0, 0x3ff00000, vcc_lo
	v_add_f64_e32 v[14:15], v[14:15], v[16:17]
	s_delay_alu instid0(VALU_DEP_2) | instskip(NEXT) | instid1(VALU_DEP_1)
	v_add_f64_e64 v[16:17], v[22:23], -v[38:39]
	v_add_f64_e32 v[20:21], v[16:17], v[14:15]
	s_delay_alu instid0(VALU_DEP_1) | instskip(SKIP_1) | instid1(VALU_DEP_2)
	v_mul_f64_e32 v[22:23], 0x3ff921fb54442d18, v[20:21]
	v_add_f64_e64 v[16:17], v[20:21], -v[16:17]
	v_fma_f64 v[24:25], v[20:21], s[4:5], -v[22:23]
	s_delay_alu instid0(VALU_DEP_2) | instskip(NEXT) | instid1(VALU_DEP_2)
	v_add_f64_e64 v[14:15], v[14:15], -v[16:17]
	v_fmamk_f64 v[16:17], v[20:21], 0x3c91a62633145c07, v[24:25]
	s_delay_alu instid0(VALU_DEP_1) | instskip(NEXT) | instid1(VALU_DEP_1)
	v_fmac_f64_e32 v[16:17], 0x3ff921fb54442d18, v[14:15]
	v_add_f64_e32 v[14:15], v[22:23], v[16:17]
	s_delay_alu instid0(VALU_DEP_1) | instskip(NEXT) | instid1(VALU_DEP_1)
	v_add_f64_e64 v[20:21], v[14:15], -v[22:23]
	v_add_f64_e64 v[16:17], v[16:17], -v[20:21]
	s_and_not1_saveexec_b32 s2, s2
	s_cbranch_execnz .LBB0_8
	s_branch .LBB0_9
.LBB0_7:
	s_and_not1_saveexec_b32 s2, s2
	s_cbranch_execz .LBB0_9
.LBB0_8:
	s_mov_b64 s[4:5], 0x3fe45f306dc9c883
	s_delay_alu instid0(SALU_CYCLE_1) | instskip(SKIP_1) | instid1(VALU_DEP_1)
	v_mul_f64_e64 v[14:15], |v[4:5]|, s[4:5]
	s_mov_b64 s[4:5], 0xbff921fb54442d18
	v_rndne_f64_e32 v[20:21], v[14:15]
	s_delay_alu instid0(VALU_DEP_1) | instskip(SKIP_2) | instid1(VALU_DEP_3)
	v_fma_f64 v[14:15], v[20:21], s[4:5], |v[4:5]|
	v_mul_f64_e32 v[16:17], 0xbc91a62633145c00, v[20:21]
	v_cvt_i32_f64_e32 v53, v[20:21]
	v_fmamk_f64 v[26:27], v[20:21], 0xbc91a62633145c00, v[14:15]
	s_delay_alu instid0(VALU_DEP_3) | instskip(NEXT) | instid1(VALU_DEP_1)
	v_add_f64_e32 v[22:23], v[14:15], v[16:17]
	v_add_f64_e64 v[24:25], v[14:15], -v[22:23]
	s_delay_alu instid0(VALU_DEP_3) | instskip(NEXT) | instid1(VALU_DEP_2)
	v_add_f64_e64 v[14:15], v[22:23], -v[26:27]
	v_add_f64_e32 v[22:23], v[24:25], v[16:17]
	v_fmamk_f64 v[16:17], v[20:21], 0x3c91a62633145c00, v[16:17]
	s_delay_alu instid0(VALU_DEP_2) | instskip(NEXT) | instid1(VALU_DEP_1)
	v_add_f64_e32 v[14:15], v[14:15], v[22:23]
	v_add_f64_e64 v[14:15], v[14:15], -v[16:17]
	s_delay_alu instid0(VALU_DEP_1) | instskip(NEXT) | instid1(VALU_DEP_1)
	v_fmamk_f64 v[16:17], v[20:21], 0xb97b839a252049c0, v[14:15]
	v_add_f64_e32 v[14:15], v[26:27], v[16:17]
	s_delay_alu instid0(VALU_DEP_1) | instskip(NEXT) | instid1(VALU_DEP_1)
	v_add_f64_e64 v[22:23], v[14:15], -v[26:27]
	v_add_f64_e64 v[16:17], v[16:17], -v[22:23]
.LBB0_9:
	s_or_b32 exec_lo, exec_lo, s2
	v_mul_f64_e32 v[6:7], 0x400921fb54442d18, v[6:7]
	v_mul_f64_e32 v[2:3], 0x400921fb54442d18, v[2:3]
                                        ; implicit-def: $vgpr55
                                        ; implicit-def: $vgpr38_vgpr39
	s_delay_alu instid0(VALU_DEP_2) | instskip(NEXT) | instid1(VALU_DEP_2)
	v_div_scale_f64 v[20:21], null, 0x40668000, 0x40668000, v[6:7]
	v_div_scale_f64 v[22:23], null, 0x40668000, 0x40668000, v[2:3]
	v_div_scale_f64 v[32:33], vcc_lo, v[6:7], 0x40668000, v[6:7]
	s_delay_alu instid0(VALU_DEP_3) | instskip(NEXT) | instid1(VALU_DEP_2)
	v_rcp_f64_e32 v[24:25], v[20:21]
	v_rcp_f64_e32 v[26:27], v[22:23]
	s_delay_alu instid0(TRANS32_DEP_2) | instskip(NEXT) | instid1(TRANS32_DEP_1)
	v_fma_f64 v[28:29], -v[20:21], v[24:25], 1.0
	v_fma_f64 v[30:31], -v[22:23], v[26:27], 1.0
	s_delay_alu instid0(VALU_DEP_2) | instskip(NEXT) | instid1(VALU_DEP_2)
	v_fmac_f64_e32 v[24:25], v[24:25], v[28:29]
	v_fmac_f64_e32 v[26:27], v[26:27], v[30:31]
	s_delay_alu instid0(VALU_DEP_2) | instskip(NEXT) | instid1(VALU_DEP_2)
	v_fma_f64 v[28:29], -v[20:21], v[24:25], 1.0
	v_fma_f64 v[30:31], -v[22:23], v[26:27], 1.0
	s_delay_alu instid0(VALU_DEP_2) | instskip(SKIP_1) | instid1(VALU_DEP_3)
	v_fmac_f64_e32 v[24:25], v[24:25], v[28:29]
	v_div_scale_f64 v[28:29], s2, v[2:3], 0x40668000, v[2:3]
	v_fmac_f64_e32 v[26:27], v[26:27], v[30:31]
	s_delay_alu instid0(VALU_DEP_3) | instskip(NEXT) | instid1(VALU_DEP_2)
	v_mul_f64_e32 v[30:31], v[32:33], v[24:25]
	v_mul_f64_e32 v[34:35], v[28:29], v[26:27]
	s_delay_alu instid0(VALU_DEP_2) | instskip(NEXT) | instid1(VALU_DEP_2)
	v_fma_f64 v[20:21], -v[20:21], v[30:31], v[32:33]
	v_fma_f64 v[22:23], -v[22:23], v[34:35], v[28:29]
	s_delay_alu instid0(VALU_DEP_2) | instskip(SKIP_1) | instid1(VALU_DEP_2)
	v_div_fmas_f64 v[20:21], v[20:21], v[24:25], v[30:31]
	s_mov_b32 vcc_lo, s2
	v_div_fmas_f64 v[22:23], v[22:23], v[26:27], v[34:35]
                                        ; implicit-def: $vgpr34_vgpr35
	s_delay_alu instid0(VALU_DEP_2) | instskip(NEXT) | instid1(VALU_DEP_2)
	v_div_fixup_f64 v[6:7], v[20:21], 0x40668000, v[6:7]
	v_div_fixup_f64 v[2:3], v[22:23], 0x40668000, v[2:3]
	s_delay_alu instid0(VALU_DEP_1) | instskip(NEXT) | instid1(VALU_DEP_1)
	v_add_f64_e64 v[2:3], v[2:3], -v[6:7]
	v_mul_f64_e32 v[6:7], 0.5, v[2:3]
	s_delay_alu instid0(VALU_DEP_1)
	v_cmp_ngt_f64_e64 s2, 0x41d00000, |v[6:7]|
	v_trig_preop_f64 v[22:23], |v[6:7]|, 0
	v_trig_preop_f64 v[20:21], |v[6:7]|, 1
	v_ldexp_f64 v[24:25], |v[6:7]|, 0xffffff80
	v_trig_preop_f64 v[2:3], |v[6:7]|, 2
	v_and_b32_e32 v26, 0x7fffffff, v7
	s_and_saveexec_b32 s3, s2
	s_delay_alu instid0(SALU_CYCLE_1)
	s_xor_b32 s3, exec_lo, s3
	s_cbranch_execz .LBB0_11
; %bb.10:
	v_cmp_le_f64_e64 vcc_lo, 0x7b000000, |v[6:7]|
	s_mov_b64 s[4:5], 0x3ff921fb54442d18
	v_dual_mov_b32 v48, 0 :: v_dual_cndmask_b32 v29, v26, v25
	v_cndmask_b32_e32 v28, v6, v24, vcc_lo
	s_delay_alu instid0(VALU_DEP_1) | instskip(SKIP_1) | instid1(VALU_DEP_2)
	v_mul_f64_e32 v[30:31], v[22:23], v[28:29]
	v_mul_f64_e32 v[32:33], v[20:21], v[28:29]
	v_fma_f64 v[34:35], v[22:23], v[28:29], -v[30:31]
	s_delay_alu instid0(VALU_DEP_1) | instskip(NEXT) | instid1(VALU_DEP_1)
	v_add_f64_e32 v[36:37], v[32:33], v[34:35]
	v_add_f64_e64 v[38:39], v[36:37], -v[32:33]
	v_add_f64_e32 v[42:43], v[30:31], v[36:37]
	s_delay_alu instid0(VALU_DEP_2) | instskip(SKIP_2) | instid1(VALU_DEP_4)
	v_add_f64_e64 v[40:41], v[36:37], -v[38:39]
	v_fma_f64 v[46:47], v[20:21], v[28:29], -v[32:33]
	v_add_f64_e64 v[34:35], v[34:35], -v[38:39]
	v_ldexp_f64 v[38:39], v[42:43], -2
	v_mul_f64_e32 v[44:45], v[2:3], v[28:29]
	v_add_f64_e64 v[32:33], v[32:33], -v[40:41]
	s_delay_alu instid0(VALU_DEP_3) | instskip(NEXT) | instid1(VALU_DEP_3)
	v_cmp_neq_f64_e64 vcc_lo, 0x7ff00000, |v[38:39]|
	v_add_f64_e32 v[40:41], v[44:45], v[46:47]
	v_fma_f64 v[28:29], v[2:3], v[28:29], -v[44:45]
	s_delay_alu instid0(VALU_DEP_4) | instskip(SKIP_1) | instid1(VALU_DEP_1)
	v_add_f64_e32 v[32:33], v[34:35], v[32:33]
	v_fract_f64_e32 v[34:35], v[38:39]
	v_ldexp_f64 v[34:35], v[34:35], 2
	s_delay_alu instid0(VALU_DEP_1) | instskip(SKIP_1) | instid1(VALU_DEP_3)
	v_cndmask_b32_e32 v35, 0, v35, vcc_lo
	v_add_f64_e64 v[30:31], v[42:43], -v[30:31]
	v_cndmask_b32_e32 v34, 0, v34, vcc_lo
	s_delay_alu instid0(VALU_DEP_2) | instskip(SKIP_1) | instid1(VALU_DEP_1)
	v_add_f64_e64 v[30:31], v[36:37], -v[30:31]
	v_add_f64_e32 v[36:37], v[40:41], v[32:33]
	v_add_f64_e32 v[38:39], v[30:31], v[36:37]
	v_add_f64_e64 v[50:51], v[36:37], -v[40:41]
	s_delay_alu instid0(VALU_DEP_2) | instskip(NEXT) | instid1(VALU_DEP_2)
	v_add_f64_e32 v[42:43], v[38:39], v[34:35]
	v_add_f64_e64 v[58:59], v[36:37], -v[50:51]
	v_add_f64_e64 v[32:33], v[32:33], -v[50:51]
	;; [unrolled: 1-line block ×3, first 2 shown]
	s_delay_alu instid0(VALU_DEP_4) | instskip(SKIP_1) | instid1(VALU_DEP_3)
	v_cmp_gt_f64_e32 vcc_lo, 0, v[42:43]
	v_add_f64_e64 v[42:43], v[40:41], -v[44:45]
	v_add_f64_e64 v[30:31], v[36:37], -v[30:31]
	v_cndmask_b32_e64 v49, 0, 0x40100000, vcc_lo
	s_delay_alu instid0(VALU_DEP_3) | instskip(SKIP_2) | instid1(VALU_DEP_4)
	v_add_f64_e64 v[56:57], v[40:41], -v[42:43]
	v_add_f64_e64 v[42:43], v[46:47], -v[42:43]
	;; [unrolled: 1-line block ×3, first 2 shown]
	v_add_f64_e32 v[34:35], v[34:35], v[48:49]
	s_delay_alu instid0(VALU_DEP_4) | instskip(NEXT) | instid1(VALU_DEP_3)
	v_add_f64_e64 v[46:47], v[44:45], -v[56:57]
	v_add_f64_e32 v[32:33], v[32:33], v[40:41]
	s_delay_alu instid0(VALU_DEP_3) | instskip(NEXT) | instid1(VALU_DEP_3)
	v_add_f64_e32 v[54:55], v[38:39], v[34:35]
	v_add_f64_e32 v[42:43], v[42:43], v[46:47]
	s_delay_alu instid0(VALU_DEP_2) | instskip(NEXT) | instid1(VALU_DEP_2)
	v_cvt_i32_f64_e32 v27, v[54:55]
	v_add_f64_e32 v[32:33], v[42:43], v[32:33]
	s_delay_alu instid0(VALU_DEP_2) | instskip(NEXT) | instid1(VALU_DEP_2)
	v_cvt_f64_i32_e32 v[50:51], v27
	v_add_f64_e32 v[28:29], v[28:29], v[32:33]
	s_delay_alu instid0(VALU_DEP_2) | instskip(NEXT) | instid1(VALU_DEP_2)
	v_add_f64_e64 v[34:35], v[34:35], -v[50:51]
	v_add_f64_e32 v[28:29], v[30:31], v[28:29]
	s_delay_alu instid0(VALU_DEP_2) | instskip(NEXT) | instid1(VALU_DEP_1)
	v_add_f64_e32 v[40:41], v[38:39], v[34:35]
	v_add_f64_e64 v[32:33], v[40:41], -v[34:35]
	v_cmp_le_f64_e32 vcc_lo, 0.5, v[40:41]
	s_delay_alu instid0(VALU_DEP_2) | instskip(SKIP_2) | instid1(VALU_DEP_3)
	v_add_f64_e64 v[30:31], v[38:39], -v[32:33]
	v_cndmask_b32_e64 v49, 0, 0x3ff00000, vcc_lo
	v_add_co_ci_u32_e64 v55, null, 0, v27, vcc_lo
	v_add_f64_e32 v[28:29], v[28:29], v[30:31]
	s_delay_alu instid0(VALU_DEP_3) | instskip(NEXT) | instid1(VALU_DEP_1)
	v_add_f64_e64 v[30:31], v[40:41], -v[48:49]
	v_add_f64_e32 v[32:33], v[30:31], v[28:29]
	s_delay_alu instid0(VALU_DEP_1) | instskip(SKIP_1) | instid1(VALU_DEP_2)
	v_mul_f64_e32 v[36:37], 0x3ff921fb54442d18, v[32:33]
	v_add_f64_e64 v[30:31], v[32:33], -v[30:31]
	v_fma_f64 v[34:35], v[32:33], s[4:5], -v[36:37]
	s_delay_alu instid0(VALU_DEP_2) | instskip(NEXT) | instid1(VALU_DEP_2)
	v_add_f64_e64 v[28:29], v[28:29], -v[30:31]
	v_fmamk_f64 v[30:31], v[32:33], 0x3c91a62633145c07, v[34:35]
	s_delay_alu instid0(VALU_DEP_1) | instskip(NEXT) | instid1(VALU_DEP_1)
	v_fmac_f64_e32 v[30:31], 0x3ff921fb54442d18, v[28:29]
	v_add_f64_e32 v[34:35], v[36:37], v[30:31]
	s_delay_alu instid0(VALU_DEP_1) | instskip(NEXT) | instid1(VALU_DEP_1)
	v_add_f64_e64 v[28:29], v[34:35], -v[36:37]
	v_add_f64_e64 v[38:39], v[30:31], -v[28:29]
	s_and_not1_saveexec_b32 s3, s3
	s_cbranch_execz .LBB0_13
	s_branch .LBB0_12
.LBB0_11:
	s_and_not1_saveexec_b32 s3, s3
	s_cbranch_execz .LBB0_13
.LBB0_12:
	s_mov_b64 s[4:5], 0x3fe45f306dc9c883
	s_delay_alu instid0(SALU_CYCLE_1) | instskip(SKIP_1) | instid1(VALU_DEP_1)
	v_mul_f64_e64 v[28:29], |v[6:7]|, s[4:5]
	s_mov_b64 s[4:5], 0xbff921fb54442d18
	v_rndne_f64_e32 v[28:29], v[28:29]
	s_delay_alu instid0(VALU_DEP_1) | instskip(SKIP_2) | instid1(VALU_DEP_2)
	v_fma_f64 v[30:31], v[28:29], s[4:5], |v[6:7]|
	v_mul_f64_e32 v[32:33], 0xbc91a62633145c00, v[28:29]
	v_cvt_i32_f64_e32 v55, v[28:29]
	v_add_f64_e32 v[34:35], v[30:31], v[32:33]
	s_delay_alu instid0(VALU_DEP_1) | instskip(SKIP_1) | instid1(VALU_DEP_1)
	v_add_f64_e64 v[36:37], v[30:31], -v[34:35]
	v_fmamk_f64 v[30:31], v[28:29], 0xbc91a62633145c00, v[30:31]
	v_add_f64_e64 v[34:35], v[34:35], -v[30:31]
	s_delay_alu instid0(VALU_DEP_3) | instskip(SKIP_1) | instid1(VALU_DEP_2)
	v_add_f64_e32 v[36:37], v[36:37], v[32:33]
	v_fmamk_f64 v[32:33], v[28:29], 0x3c91a62633145c00, v[32:33]
	v_add_f64_e32 v[34:35], v[34:35], v[36:37]
	s_delay_alu instid0(VALU_DEP_1) | instskip(NEXT) | instid1(VALU_DEP_1)
	v_add_f64_e64 v[32:33], v[34:35], -v[32:33]
	v_fmamk_f64 v[32:33], v[28:29], 0xb97b839a252049c0, v[32:33]
	s_delay_alu instid0(VALU_DEP_1) | instskip(NEXT) | instid1(VALU_DEP_1)
	v_add_f64_e32 v[34:35], v[30:31], v[32:33]
	v_add_f64_e64 v[30:31], v[34:35], -v[30:31]
	s_delay_alu instid0(VALU_DEP_1)
	v_add_f64_e64 v[38:39], v[32:33], -v[30:31]
.LBB0_13:
	s_or_b32 exec_lo, exec_lo, s3
                                        ; implicit-def: $vgpr56
                                        ; implicit-def: $vgpr46_vgpr47
                                        ; implicit-def: $vgpr48_vgpr49
	s_and_saveexec_b32 s3, s2
	s_delay_alu instid0(SALU_CYCLE_1)
	s_xor_b32 s2, exec_lo, s3
	s_cbranch_execz .LBB0_15
; %bb.14:
	v_cmp_le_f64_e64 vcc_lo, 0x7b000000, |v[6:7]|
	s_mov_b64 s[4:5], 0x3ff921fb54442d18
	v_dual_mov_b32 v44, 0 :: v_dual_cndmask_b32 v25, v26, v25
	v_cndmask_b32_e32 v24, v6, v24, vcc_lo
	s_delay_alu instid0(VALU_DEP_1) | instskip(SKIP_1) | instid1(VALU_DEP_2)
	v_mul_f64_e32 v[26:27], v[22:23], v[24:25]
	v_mul_f64_e32 v[28:29], v[20:21], v[24:25]
	v_fma_f64 v[22:23], v[22:23], v[24:25], -v[26:27]
	s_delay_alu instid0(VALU_DEP_1) | instskip(NEXT) | instid1(VALU_DEP_1)
	v_add_f64_e32 v[30:31], v[28:29], v[22:23]
	v_add_f64_e64 v[32:33], v[30:31], -v[28:29]
	v_add_f64_e32 v[40:41], v[26:27], v[30:31]
	s_delay_alu instid0(VALU_DEP_2) | instskip(SKIP_1) | instid1(VALU_DEP_3)
	v_add_f64_e64 v[36:37], v[30:31], -v[32:33]
	v_add_f64_e64 v[22:23], v[22:23], -v[32:33]
	v_ldexp_f64 v[32:33], v[40:41], -2
	v_add_f64_e64 v[26:27], v[40:41], -v[26:27]
	v_mul_f64_e32 v[42:43], v[2:3], v[24:25]
	v_fma_f64 v[20:21], v[20:21], v[24:25], -v[28:29]
	v_add_f64_e64 v[28:29], v[28:29], -v[36:37]
	v_cmp_neq_f64_e64 vcc_lo, 0x7ff00000, |v[32:33]|
	s_delay_alu instid0(VALU_DEP_4) | instskip(NEXT) | instid1(VALU_DEP_4)
	v_fma_f64 v[2:3], v[2:3], v[24:25], -v[42:43]
	v_add_f64_e32 v[36:37], v[42:43], v[20:21]
	s_delay_alu instid0(VALU_DEP_4) | instskip(SKIP_1) | instid1(VALU_DEP_1)
	v_add_f64_e32 v[22:23], v[22:23], v[28:29]
	v_fract_f64_e32 v[28:29], v[32:33]
	v_ldexp_f64 v[28:29], v[28:29], 2
	v_add_f64_e64 v[26:27], v[30:31], -v[26:27]
	s_delay_alu instid0(VALU_DEP_2) | instskip(NEXT) | instid1(VALU_DEP_1)
	v_dual_add_f64 v[30:31], v[36:37], v[22:23] :: v_dual_cndmask_b32 v28, 0, v28, vcc_lo
	v_dual_add_f64 v[32:33], v[26:27], v[30:31] :: v_dual_cndmask_b32 v29, 0, v29, vcc_lo
	v_add_f64_e64 v[46:47], v[30:31], -v[36:37]
	s_delay_alu instid0(VALU_DEP_2) | instskip(NEXT) | instid1(VALU_DEP_2)
	v_add_f64_e32 v[40:41], v[32:33], v[28:29]
	v_add_f64_e64 v[56:57], v[30:31], -v[46:47]
	v_add_f64_e64 v[22:23], v[22:23], -v[46:47]
	;; [unrolled: 1-line block ×3, first 2 shown]
	s_delay_alu instid0(VALU_DEP_4) | instskip(SKIP_1) | instid1(VALU_DEP_3)
	v_cmp_gt_f64_e32 vcc_lo, 0, v[40:41]
	v_add_f64_e64 v[40:41], v[36:37], -v[42:43]
	v_add_f64_e64 v[24:25], v[30:31], -v[24:25]
	v_cndmask_b32_e64 v45, 0, 0x40100000, vcc_lo
	s_delay_alu instid0(VALU_DEP_3) | instskip(SKIP_2) | instid1(VALU_DEP_4)
	v_add_f64_e64 v[50:51], v[36:37], -v[40:41]
	v_add_f64_e64 v[20:21], v[20:21], -v[40:41]
	;; [unrolled: 1-line block ×3, first 2 shown]
	v_add_f64_e32 v[28:29], v[28:29], v[44:45]
	s_delay_alu instid0(VALU_DEP_4) | instskip(NEXT) | instid1(VALU_DEP_3)
	v_add_f64_e64 v[40:41], v[42:43], -v[50:51]
	v_add_f64_e32 v[22:23], v[22:23], v[36:37]
	s_delay_alu instid0(VALU_DEP_3) | instskip(NEXT) | instid1(VALU_DEP_3)
	v_add_f64_e32 v[48:49], v[32:33], v[28:29]
	v_add_f64_e32 v[20:21], v[20:21], v[40:41]
	s_delay_alu instid0(VALU_DEP_2) | instskip(NEXT) | instid1(VALU_DEP_2)
	v_cvt_i32_f64_e32 v45, v[48:49]
	v_add_f64_e32 v[20:21], v[20:21], v[22:23]
	s_delay_alu instid0(VALU_DEP_2) | instskip(NEXT) | instid1(VALU_DEP_2)
	v_cvt_f64_i32_e32 v[46:47], v45
	v_add_f64_e32 v[2:3], v[2:3], v[20:21]
	s_delay_alu instid0(VALU_DEP_2) | instskip(NEXT) | instid1(VALU_DEP_2)
	v_add_f64_e64 v[28:29], v[28:29], -v[46:47]
	v_add_f64_e32 v[2:3], v[24:25], v[2:3]
	s_delay_alu instid0(VALU_DEP_2) | instskip(NEXT) | instid1(VALU_DEP_1)
	v_add_f64_e32 v[22:23], v[32:33], v[28:29]
	v_add_f64_e64 v[20:21], v[22:23], -v[28:29]
	v_cmp_le_f64_e32 vcc_lo, 0.5, v[22:23]
	s_delay_alu instid0(VALU_DEP_2) | instskip(SKIP_2) | instid1(VALU_DEP_3)
	v_add_f64_e64 v[20:21], v[32:33], -v[20:21]
	v_add_co_ci_u32_e64 v56, null, 0, v45, vcc_lo
	v_cndmask_b32_e64 v45, 0, 0x3ff00000, vcc_lo
	v_add_f64_e32 v[2:3], v[2:3], v[20:21]
	s_delay_alu instid0(VALU_DEP_2) | instskip(NEXT) | instid1(VALU_DEP_1)
	v_add_f64_e64 v[20:21], v[22:23], -v[44:45]
	v_add_f64_e32 v[22:23], v[20:21], v[2:3]
	s_delay_alu instid0(VALU_DEP_1) | instskip(SKIP_1) | instid1(VALU_DEP_2)
	v_mul_f64_e32 v[24:25], 0x3ff921fb54442d18, v[22:23]
	v_add_f64_e64 v[20:21], v[22:23], -v[20:21]
	v_fma_f64 v[26:27], v[22:23], s[4:5], -v[24:25]
	s_delay_alu instid0(VALU_DEP_2) | instskip(NEXT) | instid1(VALU_DEP_2)
	v_add_f64_e64 v[2:3], v[2:3], -v[20:21]
	v_fmamk_f64 v[20:21], v[22:23], 0x3c91a62633145c07, v[26:27]
	s_delay_alu instid0(VALU_DEP_1) | instskip(NEXT) | instid1(VALU_DEP_1)
	v_fmac_f64_e32 v[20:21], 0x3ff921fb54442d18, v[2:3]
	v_add_f64_e32 v[46:47], v[24:25], v[20:21]
	s_delay_alu instid0(VALU_DEP_1) | instskip(NEXT) | instid1(VALU_DEP_1)
	v_add_f64_e64 v[2:3], v[46:47], -v[24:25]
	v_add_f64_e64 v[48:49], v[20:21], -v[2:3]
	s_and_not1_saveexec_b32 s2, s2
	s_cbranch_execnz .LBB0_16
	s_branch .LBB0_17
.LBB0_15:
	s_and_not1_saveexec_b32 s2, s2
	s_cbranch_execz .LBB0_17
.LBB0_16:
	s_mov_b64 s[4:5], 0x3fe45f306dc9c883
	s_delay_alu instid0(SALU_CYCLE_1) | instskip(SKIP_1) | instid1(VALU_DEP_1)
	v_mul_f64_e64 v[2:3], |v[6:7]|, s[4:5]
	s_mov_b64 s[4:5], 0xbff921fb54442d18
	v_rndne_f64_e32 v[2:3], v[2:3]
	s_delay_alu instid0(VALU_DEP_1) | instskip(SKIP_2) | instid1(VALU_DEP_2)
	v_fma_f64 v[20:21], v[2:3], s[4:5], |v[6:7]|
	v_mul_f64_e32 v[22:23], 0xbc91a62633145c00, v[2:3]
	v_cvt_i32_f64_e32 v56, v[2:3]
	v_add_f64_e32 v[24:25], v[20:21], v[22:23]
	s_delay_alu instid0(VALU_DEP_1) | instskip(SKIP_1) | instid1(VALU_DEP_1)
	v_add_f64_e64 v[26:27], v[20:21], -v[24:25]
	v_fmamk_f64 v[20:21], v[2:3], 0xbc91a62633145c00, v[20:21]
	v_add_f64_e64 v[24:25], v[24:25], -v[20:21]
	s_delay_alu instid0(VALU_DEP_3) | instskip(SKIP_1) | instid1(VALU_DEP_2)
	v_add_f64_e32 v[26:27], v[26:27], v[22:23]
	v_fmamk_f64 v[22:23], v[2:3], 0x3c91a62633145c00, v[22:23]
	v_add_f64_e32 v[24:25], v[24:25], v[26:27]
	s_delay_alu instid0(VALU_DEP_1) | instskip(NEXT) | instid1(VALU_DEP_1)
	v_add_f64_e64 v[22:23], v[24:25], -v[22:23]
	v_fmamk_f64 v[22:23], v[2:3], 0xb97b839a252049c0, v[22:23]
	s_delay_alu instid0(VALU_DEP_1) | instskip(NEXT) | instid1(VALU_DEP_1)
	v_add_f64_e32 v[46:47], v[20:21], v[22:23]
	v_add_f64_e64 v[20:21], v[46:47], -v[20:21]
	s_delay_alu instid0(VALU_DEP_1)
	v_add_f64_e64 v[48:49], v[22:23], -v[20:21]
.LBB0_17:
	s_or_b32 exec_lo, exec_lo, s2
	v_cmp_ngt_f64_e64 s2, 0x41d00000, |v[18:19]|
                                        ; implicit-def: $vgpr57
                                        ; implicit-def: $vgpr2_vgpr3
                                        ; implicit-def: $vgpr50_vgpr51
	s_and_saveexec_b32 s3, s2
	s_delay_alu instid0(SALU_CYCLE_1)
	s_xor_b32 s2, exec_lo, s3
	s_cbranch_execz .LBB0_19
; %bb.18:
	v_ldexp_f64 v[2:3], |v[18:19]|, 0xffffff80
	v_cmp_le_f64_e64 vcc_lo, 0x7b000000, |v[18:19]|
	v_trig_preop_f64 v[20:21], |v[18:19]|, 0
	v_and_b32_e32 v22, 0x7fffffff, v19
	v_trig_preop_f64 v[32:33], |v[18:19]|, 2
	s_mov_b64 s[4:5], 0x3ff921fb54442d18
	s_delay_alu instid0(VALU_DEP_2) | instskip(SKIP_2) | instid1(VALU_DEP_2)
	v_dual_mov_b32 v44, 0 :: v_dual_cndmask_b32 v3, v22, v3
	v_cndmask_b32_e32 v2, v18, v2, vcc_lo
	v_trig_preop_f64 v[22:23], |v[18:19]|, 1
	v_mul_f64_e32 v[24:25], v[20:21], v[2:3]
	s_delay_alu instid0(VALU_DEP_2) | instskip(NEXT) | instid1(VALU_DEP_2)
	v_mul_f64_e32 v[26:27], v[22:23], v[2:3]
	v_fma_f64 v[20:21], v[20:21], v[2:3], -v[24:25]
	s_delay_alu instid0(VALU_DEP_1) | instskip(NEXT) | instid1(VALU_DEP_1)
	v_add_f64_e32 v[28:29], v[26:27], v[20:21]
	v_add_f64_e64 v[30:31], v[28:29], -v[26:27]
	v_add_f64_e32 v[40:41], v[24:25], v[28:29]
	s_delay_alu instid0(VALU_DEP_2) | instskip(SKIP_1) | instid1(VALU_DEP_3)
	v_add_f64_e64 v[36:37], v[28:29], -v[30:31]
	v_add_f64_e64 v[20:21], v[20:21], -v[30:31]
	v_ldexp_f64 v[30:31], v[40:41], -2
	v_add_f64_e64 v[24:25], v[40:41], -v[24:25]
	v_fma_f64 v[22:23], v[22:23], v[2:3], -v[26:27]
	v_mul_f64_e32 v[42:43], v[32:33], v[2:3]
	v_add_f64_e64 v[26:27], v[26:27], -v[36:37]
	v_cmp_neq_f64_e64 vcc_lo, 0x7ff00000, |v[30:31]|
	s_delay_alu instid0(VALU_DEP_3) | instskip(SKIP_1) | instid1(VALU_DEP_4)
	v_add_f64_e32 v[36:37], v[42:43], v[22:23]
	v_fma_f64 v[2:3], v[32:33], v[2:3], -v[42:43]
	v_add_f64_e32 v[20:21], v[20:21], v[26:27]
	v_fract_f64_e32 v[26:27], v[30:31]
	s_delay_alu instid0(VALU_DEP_1) | instskip(NEXT) | instid1(VALU_DEP_1)
	v_ldexp_f64 v[26:27], v[26:27], 2
	v_dual_add_f64 v[24:25], v[28:29], -v[24:25] :: v_dual_cndmask_b32 v27, 0, v27, vcc_lo
	s_delay_alu instid0(VALU_DEP_2) | instskip(NEXT) | instid1(VALU_DEP_1)
	v_dual_add_f64 v[28:29], v[36:37], v[20:21] :: v_dual_cndmask_b32 v26, 0, v26, vcc_lo
	v_add_f64_e32 v[30:31], v[24:25], v[28:29]
	v_add_f64_e64 v[50:51], v[28:29], -v[36:37]
	s_delay_alu instid0(VALU_DEP_2) | instskip(NEXT) | instid1(VALU_DEP_2)
	v_add_f64_e32 v[40:41], v[30:31], v[26:27]
	v_add_f64_e64 v[62:63], v[28:29], -v[50:51]
	v_add_f64_e64 v[20:21], v[20:21], -v[50:51]
	;; [unrolled: 1-line block ×3, first 2 shown]
	s_delay_alu instid0(VALU_DEP_4) | instskip(SKIP_1) | instid1(VALU_DEP_3)
	v_cmp_gt_f64_e32 vcc_lo, 0, v[40:41]
	v_add_f64_e64 v[40:41], v[36:37], -v[42:43]
	v_add_f64_e64 v[24:25], v[28:29], -v[24:25]
	v_cndmask_b32_e64 v45, 0, 0x40100000, vcc_lo
	s_delay_alu instid0(VALU_DEP_3) | instskip(SKIP_2) | instid1(VALU_DEP_4)
	v_add_f64_e64 v[60:61], v[36:37], -v[40:41]
	v_add_f64_e64 v[22:23], v[22:23], -v[40:41]
	;; [unrolled: 1-line block ×3, first 2 shown]
	v_add_f64_e32 v[26:27], v[26:27], v[44:45]
	s_delay_alu instid0(VALU_DEP_4) | instskip(NEXT) | instid1(VALU_DEP_3)
	v_add_f64_e64 v[40:41], v[42:43], -v[60:61]
	v_add_f64_e32 v[20:21], v[20:21], v[36:37]
	s_delay_alu instid0(VALU_DEP_3) | instskip(NEXT) | instid1(VALU_DEP_3)
	v_add_f64_e32 v[58:59], v[30:31], v[26:27]
	v_add_f64_e32 v[22:23], v[22:23], v[40:41]
	s_delay_alu instid0(VALU_DEP_2) | instskip(NEXT) | instid1(VALU_DEP_2)
	v_cvt_i32_f64_e32 v45, v[58:59]
	v_add_f64_e32 v[20:21], v[22:23], v[20:21]
	s_delay_alu instid0(VALU_DEP_2) | instskip(NEXT) | instid1(VALU_DEP_2)
	v_cvt_f64_i32_e32 v[50:51], v45
	v_add_f64_e32 v[2:3], v[2:3], v[20:21]
	s_delay_alu instid0(VALU_DEP_2) | instskip(NEXT) | instid1(VALU_DEP_2)
	v_add_f64_e64 v[26:27], v[26:27], -v[50:51]
	v_add_f64_e32 v[2:3], v[24:25], v[2:3]
	s_delay_alu instid0(VALU_DEP_2) | instskip(NEXT) | instid1(VALU_DEP_1)
	v_add_f64_e32 v[22:23], v[30:31], v[26:27]
	v_add_f64_e64 v[20:21], v[22:23], -v[26:27]
	v_cmp_le_f64_e32 vcc_lo, 0.5, v[22:23]
	s_delay_alu instid0(VALU_DEP_2) | instskip(SKIP_2) | instid1(VALU_DEP_3)
	v_add_f64_e64 v[20:21], v[30:31], -v[20:21]
	v_add_co_ci_u32_e64 v57, null, 0, v45, vcc_lo
	v_cndmask_b32_e64 v45, 0, 0x3ff00000, vcc_lo
	v_add_f64_e32 v[2:3], v[2:3], v[20:21]
	s_delay_alu instid0(VALU_DEP_2) | instskip(NEXT) | instid1(VALU_DEP_1)
	v_add_f64_e64 v[20:21], v[22:23], -v[44:45]
	v_add_f64_e32 v[22:23], v[20:21], v[2:3]
	s_delay_alu instid0(VALU_DEP_1) | instskip(SKIP_1) | instid1(VALU_DEP_2)
	v_mul_f64_e32 v[24:25], 0x3ff921fb54442d18, v[22:23]
	v_add_f64_e64 v[20:21], v[22:23], -v[20:21]
	v_fma_f64 v[26:27], v[22:23], s[4:5], -v[24:25]
	s_delay_alu instid0(VALU_DEP_2) | instskip(NEXT) | instid1(VALU_DEP_2)
	v_add_f64_e64 v[2:3], v[2:3], -v[20:21]
	v_fmamk_f64 v[20:21], v[22:23], 0x3c91a62633145c07, v[26:27]
	s_delay_alu instid0(VALU_DEP_1) | instskip(NEXT) | instid1(VALU_DEP_1)
	v_fmac_f64_e32 v[20:21], 0x3ff921fb54442d18, v[2:3]
	v_add_f64_e32 v[2:3], v[24:25], v[20:21]
	s_delay_alu instid0(VALU_DEP_1) | instskip(NEXT) | instid1(VALU_DEP_1)
	v_add_f64_e64 v[22:23], v[2:3], -v[24:25]
	v_add_f64_e64 v[50:51], v[20:21], -v[22:23]
.LBB0_19:
	s_and_not1_saveexec_b32 s2, s2
	s_cbranch_execz .LBB0_21
; %bb.20:
	s_mov_b64 s[4:5], 0x3fe45f306dc9c883
	s_delay_alu instid0(SALU_CYCLE_1) | instskip(SKIP_1) | instid1(VALU_DEP_1)
	v_mul_f64_e64 v[2:3], |v[18:19]|, s[4:5]
	s_mov_b64 s[4:5], 0xbff921fb54442d18
	v_rndne_f64_e32 v[20:21], v[2:3]
	s_delay_alu instid0(VALU_DEP_1) | instskip(SKIP_2) | instid1(VALU_DEP_3)
	v_fma_f64 v[2:3], v[20:21], s[4:5], |v[18:19]|
	v_mul_f64_e32 v[22:23], 0xbc91a62633145c00, v[20:21]
	v_cvt_i32_f64_e32 v57, v[20:21]
	v_fmamk_f64 v[28:29], v[20:21], 0xbc91a62633145c00, v[2:3]
	s_delay_alu instid0(VALU_DEP_3) | instskip(NEXT) | instid1(VALU_DEP_1)
	v_add_f64_e32 v[24:25], v[2:3], v[22:23]
	v_add_f64_e64 v[26:27], v[2:3], -v[24:25]
	s_delay_alu instid0(VALU_DEP_3) | instskip(NEXT) | instid1(VALU_DEP_2)
	v_add_f64_e64 v[2:3], v[24:25], -v[28:29]
	v_add_f64_e32 v[24:25], v[26:27], v[22:23]
	v_fmamk_f64 v[22:23], v[20:21], 0x3c91a62633145c00, v[22:23]
	s_delay_alu instid0(VALU_DEP_2) | instskip(NEXT) | instid1(VALU_DEP_1)
	v_add_f64_e32 v[2:3], v[2:3], v[24:25]
	v_add_f64_e64 v[2:3], v[2:3], -v[22:23]
	s_delay_alu instid0(VALU_DEP_1) | instskip(NEXT) | instid1(VALU_DEP_1)
	v_fmamk_f64 v[22:23], v[20:21], 0xb97b839a252049c0, v[2:3]
	v_add_f64_e32 v[2:3], v[28:29], v[22:23]
	s_delay_alu instid0(VALU_DEP_1) | instskip(NEXT) | instid1(VALU_DEP_1)
	v_add_f64_e64 v[24:25], v[2:3], -v[28:29]
	v_add_f64_e64 v[50:51], v[22:23], -v[24:25]
.LBB0_21:
	s_or_b32 exec_lo, exec_lo, s2
	v_cmp_ngt_f64_e64 s2, 0x41d00000, |v[0:1]|
                                        ; implicit-def: $vgpr54
                                        ; implicit-def: $vgpr20_vgpr21
                                        ; implicit-def: $vgpr22_vgpr23
	s_and_saveexec_b32 s3, s2
	s_delay_alu instid0(SALU_CYCLE_1)
	s_xor_b32 s2, exec_lo, s3
	s_cbranch_execz .LBB0_23
; %bb.22:
	v_cmp_le_f64_e64 vcc_lo, 0x7b000000, |v[0:1]|
	v_ldexp_f64 v[24:25], |v[0:1]|, 0xffffff80
	v_trig_preop_f64 v[20:21], |v[0:1]|, 0
	v_and_b32_e32 v26, 0x7fffffff, v1
	v_trig_preop_f64 v[22:23], |v[0:1]|, 1
	s_mov_b64 s[4:5], 0x3ff921fb54442d18
	s_delay_alu instid0(VALU_DEP_2) | instskip(NEXT) | instid1(VALU_DEP_1)
	v_dual_cndmask_b32 v25, v26, v25 :: v_dual_cndmask_b32 v24, v0, v24
	v_mul_f64_e32 v[28:29], v[20:21], v[24:25]
	s_delay_alu instid0(VALU_DEP_3) | instskip(NEXT) | instid1(VALU_DEP_2)
	v_mul_f64_e32 v[26:27], v[22:23], v[24:25]
	v_fma_f64 v[20:21], v[20:21], v[24:25], -v[28:29]
	s_delay_alu instid0(VALU_DEP_2) | instskip(NEXT) | instid1(VALU_DEP_2)
	v_fma_f64 v[22:23], v[22:23], v[24:25], -v[26:27]
	v_add_f64_e32 v[30:31], v[26:27], v[20:21]
	s_delay_alu instid0(VALU_DEP_1) | instskip(SKIP_1) | instid1(VALU_DEP_2)
	v_add_f64_e64 v[42:43], v[30:31], -v[26:27]
	v_add_f64_e32 v[32:33], v[28:29], v[30:31]
	v_add_f64_e64 v[20:21], v[20:21], -v[42:43]
	v_add_f64_e64 v[42:43], v[30:31], -v[42:43]
	s_delay_alu instid0(VALU_DEP_3) | instskip(SKIP_1) | instid1(VALU_DEP_3)
	v_ldexp_f64 v[36:37], v[32:33], -2
	v_add_f64_e64 v[28:29], v[32:33], -v[28:29]
	v_add_f64_e64 v[42:43], v[26:27], -v[42:43]
	v_trig_preop_f64 v[26:27], |v[0:1]|, 2
	s_delay_alu instid0(VALU_DEP_4) | instskip(NEXT) | instid1(VALU_DEP_4)
	v_fract_f64_e32 v[40:41], v[36:37]
	v_add_f64_e64 v[28:29], v[30:31], -v[28:29]
	v_cmp_neq_f64_e64 vcc_lo, 0x7ff00000, |v[36:37]|
	v_add_f64_e32 v[20:21], v[20:21], v[42:43]
	v_mul_f64_e32 v[42:43], v[26:27], v[24:25]
	s_delay_alu instid0(VALU_DEP_1) | instskip(NEXT) | instid1(VALU_DEP_1)
	v_add_f64_e32 v[44:45], v[42:43], v[22:23]
	v_add_f64_e32 v[58:59], v[44:45], v[20:21]
	s_delay_alu instid0(VALU_DEP_1) | instskip(SKIP_1) | instid1(VALU_DEP_2)
	v_add_f64_e64 v[32:33], v[58:59], -v[44:45]
	v_add_f64_e32 v[30:31], v[28:29], v[58:59]
	v_add_f64_e64 v[20:21], v[20:21], -v[32:33]
	v_add_f64_e64 v[32:33], v[58:59], -v[32:33]
	s_delay_alu instid0(VALU_DEP_3) | instskip(NEXT) | instid1(VALU_DEP_2)
	v_add_f64_e64 v[28:29], v[30:31], -v[28:29]
	v_add_f64_e64 v[32:33], v[44:45], -v[32:33]
	s_delay_alu instid0(VALU_DEP_2) | instskip(NEXT) | instid1(VALU_DEP_2)
	v_add_f64_e64 v[28:29], v[58:59], -v[28:29]
	v_add_f64_e32 v[20:21], v[20:21], v[32:33]
	v_add_f64_e64 v[32:33], v[44:45], -v[42:43]
	s_delay_alu instid0(VALU_DEP_1) | instskip(SKIP_1) | instid1(VALU_DEP_1)
	v_add_f64_e64 v[22:23], v[22:23], -v[32:33]
	v_add_f64_e64 v[32:33], v[44:45], -v[32:33]
	v_add_f64_e64 v[32:33], v[42:43], -v[32:33]
	s_delay_alu instid0(VALU_DEP_1) | instskip(NEXT) | instid1(VALU_DEP_1)
	v_add_f64_e32 v[22:23], v[22:23], v[32:33]
	v_add_f64_e32 v[20:21], v[22:23], v[20:21]
	v_fma_f64 v[22:23], v[26:27], v[24:25], -v[42:43]
	s_delay_alu instid0(VALU_DEP_1) | instskip(SKIP_1) | instid1(VALU_DEP_1)
	v_add_f64_e32 v[20:21], v[22:23], v[20:21]
	v_ldexp_f64 v[22:23], v[40:41], 2
	v_dual_add_f64 v[20:21], v[28:29], v[20:21] :: v_dual_cndmask_b32 v23, 0, v23, vcc_lo
	s_delay_alu instid0(VALU_DEP_2) | instskip(NEXT) | instid1(VALU_DEP_1)
	v_cndmask_b32_e32 v22, 0, v22, vcc_lo
	v_add_f64_e32 v[24:25], v[30:31], v[22:23]
	s_delay_alu instid0(VALU_DEP_1) | instskip(SKIP_2) | instid1(VALU_DEP_1)
	v_cmp_gt_f64_e32 vcc_lo, 0, v[24:25]
	v_mov_b32_e32 v24, 0
	v_cndmask_b32_e64 v25, 0, 0x40100000, vcc_lo
	v_add_f64_e32 v[22:23], v[22:23], v[24:25]
	s_delay_alu instid0(VALU_DEP_1) | instskip(NEXT) | instid1(VALU_DEP_1)
	v_add_f64_e32 v[26:27], v[30:31], v[22:23]
	v_cvt_i32_f64_e32 v25, v[26:27]
	s_delay_alu instid0(VALU_DEP_1) | instskip(NEXT) | instid1(VALU_DEP_1)
	v_cvt_f64_i32_e32 v[26:27], v25
	v_add_f64_e64 v[22:23], v[22:23], -v[26:27]
	s_delay_alu instid0(VALU_DEP_1) | instskip(NEXT) | instid1(VALU_DEP_1)
	v_add_f64_e32 v[26:27], v[30:31], v[22:23]
	v_add_f64_e64 v[22:23], v[26:27], -v[22:23]
	v_cmp_le_f64_e32 vcc_lo, 0.5, v[26:27]
	s_delay_alu instid0(VALU_DEP_2) | instskip(SKIP_2) | instid1(VALU_DEP_3)
	v_add_f64_e64 v[22:23], v[30:31], -v[22:23]
	v_add_co_ci_u32_e64 v54, null, 0, v25, vcc_lo
	v_cndmask_b32_e64 v25, 0, 0x3ff00000, vcc_lo
	v_add_f64_e32 v[20:21], v[20:21], v[22:23]
	s_delay_alu instid0(VALU_DEP_2) | instskip(NEXT) | instid1(VALU_DEP_1)
	v_add_f64_e64 v[22:23], v[26:27], -v[24:25]
	v_add_f64_e32 v[24:25], v[22:23], v[20:21]
	s_delay_alu instid0(VALU_DEP_1) | instskip(NEXT) | instid1(VALU_DEP_1)
	v_add_f64_e64 v[22:23], v[24:25], -v[22:23]
	v_add_f64_e64 v[20:21], v[20:21], -v[22:23]
	v_mul_f64_e32 v[22:23], 0x3ff921fb54442d18, v[24:25]
	s_delay_alu instid0(VALU_DEP_1) | instskip(NEXT) | instid1(VALU_DEP_1)
	v_fma_f64 v[26:27], v[24:25], s[4:5], -v[22:23]
	v_fmamk_f64 v[24:25], v[24:25], 0x3c91a62633145c07, v[26:27]
	s_delay_alu instid0(VALU_DEP_1) | instskip(NEXT) | instid1(VALU_DEP_1)
	v_fmac_f64_e32 v[24:25], 0x3ff921fb54442d18, v[20:21]
	v_add_f64_e32 v[20:21], v[22:23], v[24:25]
	s_delay_alu instid0(VALU_DEP_1) | instskip(NEXT) | instid1(VALU_DEP_1)
	v_add_f64_e64 v[22:23], v[20:21], -v[22:23]
	v_add_f64_e64 v[22:23], v[24:25], -v[22:23]
.LBB0_23:
	s_and_not1_saveexec_b32 s2, s2
	s_cbranch_execz .LBB0_25
; %bb.24:
	s_mov_b64 s[4:5], 0x3fe45f306dc9c883
	s_delay_alu instid0(SALU_CYCLE_1) | instskip(SKIP_1) | instid1(VALU_DEP_1)
	v_mul_f64_e64 v[20:21], |v[0:1]|, s[4:5]
	s_mov_b64 s[4:5], 0xbff921fb54442d18
	v_rndne_f64_e32 v[24:25], v[20:21]
	s_delay_alu instid0(VALU_DEP_1) | instskip(SKIP_2) | instid1(VALU_DEP_3)
	v_fma_f64 v[20:21], v[24:25], s[4:5], |v[0:1]|
	v_mul_f64_e32 v[22:23], 0xbc91a62633145c00, v[24:25]
	v_cvt_i32_f64_e32 v54, v[24:25]
	v_fmamk_f64 v[30:31], v[24:25], 0xbc91a62633145c00, v[20:21]
	s_delay_alu instid0(VALU_DEP_3) | instskip(NEXT) | instid1(VALU_DEP_1)
	v_add_f64_e32 v[26:27], v[20:21], v[22:23]
	v_add_f64_e64 v[28:29], v[20:21], -v[26:27]
	s_delay_alu instid0(VALU_DEP_3) | instskip(NEXT) | instid1(VALU_DEP_2)
	v_add_f64_e64 v[20:21], v[26:27], -v[30:31]
	v_add_f64_e32 v[26:27], v[28:29], v[22:23]
	v_fmamk_f64 v[22:23], v[24:25], 0x3c91a62633145c00, v[22:23]
	s_delay_alu instid0(VALU_DEP_2) | instskip(NEXT) | instid1(VALU_DEP_1)
	v_add_f64_e32 v[20:21], v[20:21], v[26:27]
	v_add_f64_e64 v[20:21], v[20:21], -v[22:23]
	s_delay_alu instid0(VALU_DEP_1) | instskip(NEXT) | instid1(VALU_DEP_1)
	v_fmamk_f64 v[22:23], v[24:25], 0xb97b839a252049c0, v[20:21]
	v_add_f64_e32 v[20:21], v[30:31], v[22:23]
	s_delay_alu instid0(VALU_DEP_1) | instskip(NEXT) | instid1(VALU_DEP_1)
	v_add_f64_e64 v[26:27], v[20:21], -v[30:31]
	v_add_f64_e64 v[22:23], v[22:23], -v[26:27]
.LBB0_25:
	s_or_b32 exec_lo, exec_lo, s2
	v_mul_f64_e32 v[58:59], v[2:3], v[2:3]
	v_mov_b64_e32 v[44:45], 0x3e21eeb69037ab78
	s_load_b64 s[2:3], s[0:1], 0x8
	v_mov_b64_e32 v[42:43], 0xbe927e4fa17f65f6
	v_mov_b64_e32 v[40:41], 0x3efa01a019f4ec90
	;; [unrolled: 1-line block ×4, first 2 shown]
	v_mul_f64_e32 v[24:25], -0.5, v[58:59]
	v_fmamk_f64 v[30:31], v[58:59], 0xbda907db46cc5e42, v[44:45]
	v_mul_f64_e64 v[64:65], v[2:3], -v[58:59]
	s_delay_alu instid0(VALU_DEP_2) | instskip(NEXT) | instid1(VALU_DEP_1)
	v_fmaak_f64 v[30:31], v[58:59], v[30:31], 0xbe927e4fa17f65f6
	v_fmaak_f64 v[30:31], v[58:59], v[30:31], 0x3efa01a019f4ec90
	s_delay_alu instid0(VALU_DEP_1) | instskip(NEXT) | instid1(VALU_DEP_1)
	v_fmaak_f64 v[30:31], v[58:59], v[30:31], 0xbf56c16c16c16967
	v_fmaak_f64 v[30:31], v[58:59], v[30:31], 0x3fa5555555555555
	v_add_f64_e32 v[26:27], 1.0, v[24:25]
	s_delay_alu instid0(VALU_DEP_1) | instskip(NEXT) | instid1(VALU_DEP_1)
	v_add_f64_e64 v[28:29], -v[26:27], 1.0
	v_add_f64_e32 v[24:25], v[28:29], v[24:25]
	v_mul_f64_e32 v[28:29], v[58:59], v[58:59]
	s_delay_alu instid0(VALU_DEP_2) | instskip(NEXT) | instid1(VALU_DEP_1)
	v_fma_f64 v[24:25], v[2:3], -v[50:51], v[24:25]
	v_fmac_f64_e32 v[24:25], v[28:29], v[30:31]
	v_mov_b64_e32 v[30:31], 0xbe5ae600b42fdfa7
	v_mov_b64_e32 v[28:29], 0x3ec71de3796cde01
	s_delay_alu instid0(VALU_DEP_3) | instskip(SKIP_1) | instid1(VALU_DEP_4)
	v_add_f64_e32 v[60:61], v[26:27], v[24:25]
	v_mul_f64_e32 v[66:67], 0.5, v[50:51]
	v_fmamk_f64 v[24:25], v[58:59], 0x3de5e0b2f9a43bb8, v[30:31]
	v_mov_b64_e32 v[26:27], 0xbf2a01a019e83e5c
	s_delay_alu instid0(VALU_DEP_2) | instskip(NEXT) | instid1(VALU_DEP_1)
	v_fmaak_f64 v[24:25], v[58:59], v[24:25], 0x3ec71de3796cde01
	v_fmaak_f64 v[62:63], v[58:59], v[24:25], 0xbf2a01a019e83e5c
	v_mov_b64_e32 v[24:25], 0x3f81111111110bb3
	s_delay_alu instid0(VALU_DEP_2) | instskip(NEXT) | instid1(VALU_DEP_1)
	v_fmaak_f64 v[62:63], v[58:59], v[62:63], 0x3f81111111110bb3
	v_fmac_f64_e32 v[66:67], v[64:65], v[62:63]
	s_delay_alu instid0(VALU_DEP_1) | instskip(NEXT) | instid1(VALU_DEP_1)
	v_fma_f64 v[50:51], v[58:59], v[66:67], -v[50:51]
	v_fmac_f64_e32 v[50:51], 0xbfc5555555555555, v[64:65]
	s_delay_alu instid0(VALU_DEP_1) | instskip(NEXT) | instid1(VALU_DEP_1)
	v_dual_add_f64 v[2:3], v[2:3], -v[50:51] :: v_dual_bitop2_b32 v50, 1, v57 bitop3:0x40
	v_cmp_eq_u32_e32 vcc_lo, 0, v50
	v_lshlrev_b32_e32 v50, 30, v57
	s_delay_alu instid0(VALU_DEP_3) | instskip(NEXT) | instid1(VALU_DEP_1)
	v_xor_b32_e32 v3, 0x80000000, v3
	v_dual_cndmask_b32 v2, v2, v60 :: v_dual_cndmask_b32 v3, v3, v61
	v_cmp_class_f64_e64 vcc_lo, v[18:19], 0x1f8
	v_mul_f64_e32 v[18:19], v[34:35], v[34:35]
	s_delay_alu instid0(VALU_DEP_3) | instskip(NEXT) | instid1(VALU_DEP_4)
	v_bitop3_b32 v3, v3, v50, 0x80000000 bitop3:0x78
	v_cndmask_b32_e32 v2, 0, v2, vcc_lo
	s_delay_alu instid0(VALU_DEP_3) | instskip(SKIP_1) | instid1(VALU_DEP_4)
	v_mul_f64_e32 v[50:51], -0.5, v[18:19]
	v_fmamk_f64 v[62:63], v[18:19], 0xbda907db46cc5e42, v[44:45]
	v_cndmask_b32_e32 v3, 0x7ff80000, v3, vcc_lo
	s_delay_alu instid0(VALU_DEP_2) | instskip(NEXT) | instid1(VALU_DEP_1)
	v_fmaak_f64 v[62:63], v[18:19], v[62:63], 0xbe927e4fa17f65f6
	v_fmaak_f64 v[62:63], v[18:19], v[62:63], 0x3efa01a019f4ec90
	s_delay_alu instid0(VALU_DEP_1) | instskip(NEXT) | instid1(VALU_DEP_1)
	v_fmaak_f64 v[62:63], v[18:19], v[62:63], 0xbf56c16c16c16967
	v_fmaak_f64 v[62:63], v[18:19], v[62:63], 0x3fa5555555555555
	v_add_f64_e32 v[58:59], 1.0, v[50:51]
	s_delay_alu instid0(VALU_DEP_1) | instskip(NEXT) | instid1(VALU_DEP_1)
	v_add_f64_e64 v[60:61], -v[58:59], 1.0
	v_add_f64_e32 v[50:51], v[60:61], v[50:51]
	v_mul_f64_e32 v[60:61], v[18:19], v[18:19]
	s_delay_alu instid0(VALU_DEP_2) | instskip(NEXT) | instid1(VALU_DEP_1)
	v_fma_f64 v[50:51], v[34:35], -v[38:39], v[50:51]
	v_fmac_f64_e32 v[50:51], v[60:61], v[62:63]
	v_mul_f64_e64 v[60:61], v[34:35], -v[18:19]
	v_mul_f64_e32 v[62:63], 0.5, v[38:39]
	s_delay_alu instid0(VALU_DEP_3) | instskip(SKIP_1) | instid1(VALU_DEP_1)
	v_add_f64_e32 v[50:51], v[58:59], v[50:51]
	v_fmamk_f64 v[58:59], v[18:19], 0x3de5e0b2f9a43bb8, v[30:31]
	v_fmaak_f64 v[58:59], v[18:19], v[58:59], 0x3ec71de3796cde01
	s_delay_alu instid0(VALU_DEP_1) | instskip(NEXT) | instid1(VALU_DEP_1)
	v_fmaak_f64 v[58:59], v[18:19], v[58:59], 0xbf2a01a019e83e5c
	v_fmaak_f64 v[58:59], v[18:19], v[58:59], 0x3f81111111110bb3
	s_delay_alu instid0(VALU_DEP_1) | instskip(NEXT) | instid1(VALU_DEP_1)
	v_fmac_f64_e32 v[62:63], v[60:61], v[58:59]
	v_fma_f64 v[18:19], v[18:19], v[62:63], -v[38:39]
	s_delay_alu instid0(VALU_DEP_1) | instskip(NEXT) | instid1(VALU_DEP_1)
	v_fmac_f64_e32 v[18:19], 0xbfc5555555555555, v[60:61]
	v_add_f64_e64 v[18:19], v[34:35], -v[18:19]
	v_and_b32_e32 v34, 1, v55
	s_delay_alu instid0(VALU_DEP_1) | instskip(NEXT) | instid1(VALU_DEP_3)
	v_cmp_eq_u32_e32 vcc_lo, 0, v34
	v_dual_lshlrev_b32 v34, 30, v55 :: v_dual_cndmask_b32 v18, v50, v18, vcc_lo
	s_delay_alu instid0(VALU_DEP_4) | instskip(SKIP_1) | instid1(VALU_DEP_3)
	v_cndmask_b32_e32 v19, v51, v19, vcc_lo
	v_cmp_class_f64_e64 vcc_lo, v[6:7], 0x1f8
	v_xor_b32_e32 v34, v34, v7
	v_and_b32_e32 v6, 1, v56
	s_wait_xcnt 0x0
	s_delay_alu instid0(VALU_DEP_1) | instskip(SKIP_3) | instid1(VALU_DEP_2)
	v_cmp_eq_u32_e64 s0, 0, v6
	v_cndmask_b32_e32 v18, 0, v18, vcc_lo
	v_bitop3_b32 v19, v19, v34, 0x80000000 bitop3:0x78
	v_mul_f64_e32 v[34:35], v[46:47], v[46:47]
	v_cndmask_b32_e32 v19, 0x7ff80000, v19, vcc_lo
	s_delay_alu instid0(VALU_DEP_2) | instskip(SKIP_1) | instid1(VALU_DEP_1)
	v_mul_f64_e32 v[38:39], -0.5, v[34:35]
	v_fmamk_f64 v[60:61], v[34:35], 0xbda907db46cc5e42, v[44:45]
	v_fmaak_f64 v[60:61], v[34:35], v[60:61], 0xbe927e4fa17f65f6
	s_delay_alu instid0(VALU_DEP_1) | instskip(NEXT) | instid1(VALU_DEP_1)
	v_fmaak_f64 v[60:61], v[34:35], v[60:61], 0x3efa01a019f4ec90
	v_fmaak_f64 v[60:61], v[34:35], v[60:61], 0xbf56c16c16c16967
	s_delay_alu instid0(VALU_DEP_1) | instskip(SKIP_1) | instid1(VALU_DEP_1)
	v_fmaak_f64 v[60:61], v[34:35], v[60:61], 0x3fa5555555555555
	v_add_f64_e32 v[50:51], 1.0, v[38:39]
	v_add_f64_e64 v[58:59], -v[50:51], 1.0
	s_delay_alu instid0(VALU_DEP_1) | instskip(SKIP_1) | instid1(VALU_DEP_2)
	v_add_f64_e32 v[38:39], v[58:59], v[38:39]
	v_mul_f64_e32 v[58:59], v[34:35], v[34:35]
	v_fma_f64 v[38:39], v[46:47], -v[48:49], v[38:39]
	s_delay_alu instid0(VALU_DEP_1) | instskip(SKIP_1) | instid1(VALU_DEP_2)
	v_fmac_f64_e32 v[38:39], v[58:59], v[60:61]
	v_mul_f64_e64 v[58:59], v[46:47], -v[34:35]
	v_add_f64_e32 v[38:39], v[50:51], v[38:39]
	v_mul_f64_e32 v[60:61], 0.5, v[48:49]
	v_fmamk_f64 v[50:51], v[34:35], 0x3de5e0b2f9a43bb8, v[30:31]
	s_delay_alu instid0(VALU_DEP_1) | instskip(NEXT) | instid1(VALU_DEP_1)
	v_fmaak_f64 v[50:51], v[34:35], v[50:51], 0x3ec71de3796cde01
	v_fmaak_f64 v[50:51], v[34:35], v[50:51], 0xbf2a01a019e83e5c
	s_delay_alu instid0(VALU_DEP_1) | instskip(NEXT) | instid1(VALU_DEP_1)
	v_fmaak_f64 v[50:51], v[34:35], v[50:51], 0x3f81111111110bb3
	v_fmac_f64_e32 v[60:61], v[58:59], v[50:51]
	s_delay_alu instid0(VALU_DEP_1) | instskip(NEXT) | instid1(VALU_DEP_1)
	v_fma_f64 v[34:35], v[34:35], v[60:61], -v[48:49]
	v_fmac_f64_e32 v[34:35], 0xbfc5555555555555, v[58:59]
	s_delay_alu instid0(VALU_DEP_1) | instskip(NEXT) | instid1(VALU_DEP_1)
	v_add_f64_e64 v[34:35], v[46:47], -v[34:35]
	v_dual_cndmask_b32 v6, v38, v34, s0 :: v_dual_cndmask_b32 v34, v39, v35, s0
	s_delay_alu instid0(VALU_DEP_1) | instskip(NEXT) | instid1(VALU_DEP_1)
	v_dual_cndmask_b32 v6, 0, v6 :: v_dual_lshlrev_b32 v35, 30, v56
	v_xor_b32_e32 v7, v35, v7
	s_delay_alu instid0(VALU_DEP_1) | instskip(NEXT) | instid1(VALU_DEP_1)
	v_bitop3_b32 v7, v34, v7, 0x80000000 bitop3:0x78
	v_cndmask_b32_e32 v7, 0x7ff80000, v7, vcc_lo
	s_delay_alu instid0(VALU_DEP_1) | instskip(SKIP_1) | instid1(VALU_DEP_1)
	v_mul_f64_e32 v[6:7], v[18:19], v[6:7]
	v_mul_f64_e32 v[18:19], v[10:11], v[10:11]
	v_mul_f64_e32 v[34:35], -0.5, v[18:19]
	v_fmamk_f64 v[48:49], v[18:19], 0xbda907db46cc5e42, v[44:45]
	s_delay_alu instid0(VALU_DEP_1) | instskip(NEXT) | instid1(VALU_DEP_1)
	v_fmaak_f64 v[48:49], v[18:19], v[48:49], 0xbe927e4fa17f65f6
	v_fmaak_f64 v[48:49], v[18:19], v[48:49], 0x3efa01a019f4ec90
	s_delay_alu instid0(VALU_DEP_1) | instskip(NEXT) | instid1(VALU_DEP_1)
	v_fmaak_f64 v[48:49], v[18:19], v[48:49], 0xbf56c16c16c16967
	v_fmaak_f64 v[48:49], v[18:19], v[48:49], 0x3fa5555555555555
	v_add_f64_e32 v[38:39], 1.0, v[34:35]
	s_delay_alu instid0(VALU_DEP_1) | instskip(NEXT) | instid1(VALU_DEP_1)
	v_add_f64_e64 v[46:47], -v[38:39], 1.0
	v_add_f64_e32 v[34:35], v[46:47], v[34:35]
	v_mul_f64_e32 v[46:47], v[18:19], v[18:19]
	s_delay_alu instid0(VALU_DEP_2) | instskip(NEXT) | instid1(VALU_DEP_1)
	v_fma_f64 v[34:35], v[10:11], -v[12:13], v[34:35]
	v_fmac_f64_e32 v[34:35], v[46:47], v[48:49]
	v_mul_f64_e64 v[46:47], v[10:11], -v[18:19]
	v_mul_f64_e32 v[48:49], 0.5, v[12:13]
	s_delay_alu instid0(VALU_DEP_3) | instskip(SKIP_1) | instid1(VALU_DEP_1)
	v_add_f64_e32 v[34:35], v[38:39], v[34:35]
	v_fmamk_f64 v[38:39], v[18:19], 0x3de5e0b2f9a43bb8, v[30:31]
	v_fmaak_f64 v[38:39], v[18:19], v[38:39], 0x3ec71de3796cde01
	s_delay_alu instid0(VALU_DEP_1) | instskip(NEXT) | instid1(VALU_DEP_1)
	v_fmaak_f64 v[38:39], v[18:19], v[38:39], 0xbf2a01a019e83e5c
	v_fmaak_f64 v[38:39], v[18:19], v[38:39], 0x3f81111111110bb3
	s_delay_alu instid0(VALU_DEP_1) | instskip(NEXT) | instid1(VALU_DEP_1)
	v_fmac_f64_e32 v[48:49], v[46:47], v[38:39]
	v_fma_f64 v[12:13], v[18:19], v[48:49], -v[12:13]
	s_delay_alu instid0(VALU_DEP_1) | instskip(NEXT) | instid1(VALU_DEP_1)
	v_fmac_f64_e32 v[12:13], 0xbfc5555555555555, v[46:47]
	v_add_f64_e64 v[10:11], v[10:11], -v[12:13]
	v_and_b32_e32 v12, 1, v52
	s_delay_alu instid0(VALU_DEP_1) | instskip(SKIP_1) | instid1(VALU_DEP_1)
	v_cmp_eq_u32_e32 vcc_lo, 0, v12
	v_lshlrev_b32_e32 v12, 30, v52
	v_dual_cndmask_b32 v11, v35, v11, vcc_lo :: v_dual_bitop2_b32 v12, v12, v5 bitop3:0x14
	v_cndmask_b32_e32 v10, v34, v10, vcc_lo
	v_cmp_class_f64_e64 vcc_lo, v[4:5], 0x1f8
	v_and_b32_e32 v4, 1, v53
	s_delay_alu instid0(VALU_DEP_4) | instskip(SKIP_1) | instid1(VALU_DEP_3)
	v_bitop3_b32 v11, v11, v12, 0x80000000 bitop3:0x78
	v_mul_f64_e32 v[12:13], v[14:15], v[14:15]
	v_cmp_eq_u32_e64 s0, 0, v4
	v_cndmask_b32_e32 v10, 0, v10, vcc_lo
	s_delay_alu instid0(VALU_DEP_4) | instskip(NEXT) | instid1(VALU_DEP_4)
	v_cndmask_b32_e32 v11, 0x7ff80000, v11, vcc_lo
	v_mul_f64_e32 v[18:19], -0.5, v[12:13]
	v_fmamk_f64 v[46:47], v[12:13], 0xbda907db46cc5e42, v[44:45]
	s_delay_alu instid0(VALU_DEP_1) | instskip(NEXT) | instid1(VALU_DEP_1)
	v_fmaak_f64 v[46:47], v[12:13], v[46:47], 0xbe927e4fa17f65f6
	v_fmaak_f64 v[46:47], v[12:13], v[46:47], 0x3efa01a019f4ec90
	s_delay_alu instid0(VALU_DEP_1) | instskip(NEXT) | instid1(VALU_DEP_1)
	v_fmaak_f64 v[46:47], v[12:13], v[46:47], 0xbf56c16c16c16967
	v_fmaak_f64 v[46:47], v[12:13], v[46:47], 0x3fa5555555555555
	v_add_f64_e32 v[34:35], 1.0, v[18:19]
	s_delay_alu instid0(VALU_DEP_1) | instskip(NEXT) | instid1(VALU_DEP_1)
	v_add_f64_e64 v[38:39], -v[34:35], 1.0
	v_add_f64_e32 v[18:19], v[38:39], v[18:19]
	v_mul_f64_e32 v[38:39], v[12:13], v[12:13]
	s_delay_alu instid0(VALU_DEP_2) | instskip(NEXT) | instid1(VALU_DEP_1)
	v_fma_f64 v[18:19], v[14:15], -v[16:17], v[18:19]
	v_fmac_f64_e32 v[18:19], v[38:39], v[46:47]
	v_mul_f64_e64 v[38:39], v[14:15], -v[12:13]
	v_mul_f64_e32 v[46:47], 0.5, v[16:17]
	s_delay_alu instid0(VALU_DEP_3) | instskip(SKIP_1) | instid1(VALU_DEP_1)
	v_add_f64_e32 v[18:19], v[34:35], v[18:19]
	v_fmamk_f64 v[34:35], v[12:13], 0x3de5e0b2f9a43bb8, v[30:31]
	v_fmaak_f64 v[34:35], v[12:13], v[34:35], 0x3ec71de3796cde01
	s_delay_alu instid0(VALU_DEP_1) | instskip(NEXT) | instid1(VALU_DEP_1)
	v_fmaak_f64 v[34:35], v[12:13], v[34:35], 0xbf2a01a019e83e5c
	v_fmaak_f64 v[34:35], v[12:13], v[34:35], 0x3f81111111110bb3
	s_delay_alu instid0(VALU_DEP_1) | instskip(NEXT) | instid1(VALU_DEP_1)
	v_fmac_f64_e32 v[46:47], v[38:39], v[34:35]
	v_fma_f64 v[12:13], v[12:13], v[46:47], -v[16:17]
	s_delay_alu instid0(VALU_DEP_1) | instskip(NEXT) | instid1(VALU_DEP_1)
	v_fmac_f64_e32 v[12:13], 0xbfc5555555555555, v[38:39]
	v_add_f64_e64 v[12:13], v[14:15], -v[12:13]
	s_delay_alu instid0(VALU_DEP_1) | instskip(SKIP_2) | instid1(VALU_DEP_1)
	v_dual_cndmask_b32 v4, v18, v12, s0 :: v_dual_cndmask_b32 v12, v19, v13, s0
	v_lshlrev_b32_e32 v13, 30, v53
	s_mov_b64 s[0:1], 0x3fa059859fea6a70
	v_dual_cndmask_b32 v4, 0, v4, vcc_lo :: v_dual_bitop2_b32 v5, v13, v5 bitop3:0x14
	s_delay_alu instid0(VALU_DEP_1) | instskip(SKIP_1) | instid1(VALU_DEP_2)
	v_bitop3_b32 v5, v12, v5, 0x80000000 bitop3:0x78
	v_mul_f64_e32 v[12:13], v[20:21], v[20:21]
	v_cndmask_b32_e32 v5, 0x7ff80000, v5, vcc_lo
	s_delay_alu instid0(VALU_DEP_2) | instskip(SKIP_2) | instid1(VALU_DEP_3)
	v_mul_f64_e32 v[14:15], -0.5, v[12:13]
	v_fmac_f64_e32 v[44:45], 0xbda907db46cc5e42, v[12:13]
	v_fmac_f64_e32 v[30:31], 0x3de5e0b2f9a43bb8, v[12:13]
	v_add_f64_e32 v[16:17], 1.0, v[14:15]
	s_delay_alu instid0(VALU_DEP_3) | instskip(NEXT) | instid1(VALU_DEP_3)
	v_fmac_f64_e32 v[42:43], v[12:13], v[44:45]
	v_fmac_f64_e32 v[28:29], v[12:13], v[30:31]
	s_delay_alu instid0(VALU_DEP_3) | instskip(NEXT) | instid1(VALU_DEP_3)
	v_add_f64_e64 v[18:19], -v[16:17], 1.0
	v_fmac_f64_e32 v[40:41], v[12:13], v[42:43]
	s_delay_alu instid0(VALU_DEP_3) | instskip(NEXT) | instid1(VALU_DEP_3)
	v_fmac_f64_e32 v[26:27], v[12:13], v[28:29]
	v_add_f64_e32 v[14:15], v[18:19], v[14:15]
	s_delay_alu instid0(VALU_DEP_3) | instskip(SKIP_1) | instid1(VALU_DEP_4)
	v_fmac_f64_e32 v[36:37], v[12:13], v[40:41]
	v_mul_f64_e32 v[18:19], v[12:13], v[12:13]
	v_fmac_f64_e32 v[24:25], v[12:13], v[26:27]
	s_delay_alu instid0(VALU_DEP_4) | instskip(NEXT) | instid1(VALU_DEP_4)
	v_fma_f64 v[14:15], v[20:21], -v[22:23], v[14:15]
	v_fmac_f64_e32 v[32:33], v[12:13], v[36:37]
	s_delay_alu instid0(VALU_DEP_1) | instskip(SKIP_1) | instid1(VALU_DEP_2)
	v_fmac_f64_e32 v[14:15], v[18:19], v[32:33]
	v_mul_f64_e32 v[18:19], 0.5, v[22:23]
	v_add_f64_e32 v[14:15], v[16:17], v[14:15]
	v_mul_f64_e64 v[16:17], v[20:21], -v[12:13]
	s_delay_alu instid0(VALU_DEP_1) | instskip(NEXT) | instid1(VALU_DEP_1)
	v_fmac_f64_e32 v[18:19], v[16:17], v[24:25]
	v_fma_f64 v[12:13], v[12:13], v[18:19], -v[22:23]
	s_delay_alu instid0(VALU_DEP_1) | instskip(SKIP_1) | instid1(VALU_DEP_1)
	v_fmac_f64_e32 v[12:13], 0xbfc5555555555555, v[16:17]
	v_and_b32_e32 v16, 1, v54
	v_cmp_eq_u32_e32 vcc_lo, 0, v16
	s_delay_alu instid0(VALU_DEP_3) | instskip(NEXT) | instid1(VALU_DEP_1)
	v_add_f64_e64 v[12:13], v[20:21], -v[12:13]
	v_xor_b32_e32 v13, 0x80000000, v13
	s_delay_alu instid0(VALU_DEP_2) | instskip(NEXT) | instid1(VALU_DEP_2)
	v_cndmask_b32_e32 v12, v12, v14, vcc_lo
	v_dual_cndmask_b32 v13, v13, v15 :: v_dual_lshlrev_b32 v14, 30, v54
	v_cmp_class_f64_e64 vcc_lo, v[0:1], 0x1f8
	s_delay_alu instid0(VALU_DEP_2) | instskip(NEXT) | instid1(VALU_DEP_4)
	v_bitop3_b32 v13, v13, v14, 0x80000000 bitop3:0x78
	v_cndmask_b32_e32 v0, 0, v12, vcc_lo
	s_delay_alu instid0(VALU_DEP_2) | instskip(NEXT) | instid1(VALU_DEP_1)
	v_cndmask_b32_e32 v1, 0x7ff80000, v13, vcc_lo
	v_mul_f64_e32 v[0:1], v[2:3], v[0:1]
	s_delay_alu instid0(VALU_DEP_1) | instskip(NEXT) | instid1(VALU_DEP_1)
	v_mul_f64_e32 v[0:1], v[6:7], v[0:1]
	v_fmac_f64_e32 v[0:1], v[10:11], v[4:5]
	s_delay_alu instid0(VALU_DEP_1) | instskip(SKIP_1) | instid1(VALU_DEP_1)
	v_cmp_gt_f64_e32 vcc_lo, 0x10000000, v[0:1]
	v_cndmask_b32_e64 v2, 0, 0x100, vcc_lo
	v_ldexp_f64 v[0:1], v[0:1], v2
	s_delay_alu instid0(VALU_DEP_1) | instskip(SKIP_1) | instid1(TRANS32_DEP_1)
	v_rsq_f64_e32 v[2:3], v[0:1]
	v_nop
	v_mul_f64_e32 v[4:5], v[0:1], v[2:3]
	v_mul_f64_e32 v[2:3], 0.5, v[2:3]
	s_delay_alu instid0(VALU_DEP_1) | instskip(NEXT) | instid1(VALU_DEP_1)
	v_fma_f64 v[6:7], -v[2:3], v[4:5], 0.5
	v_fmac_f64_e32 v[4:5], v[4:5], v[6:7]
	v_fmac_f64_e32 v[2:3], v[2:3], v[6:7]
	s_delay_alu instid0(VALU_DEP_2) | instskip(NEXT) | instid1(VALU_DEP_1)
	v_fma_f64 v[10:11], -v[4:5], v[4:5], v[0:1]
	v_fmac_f64_e32 v[4:5], v[10:11], v[2:3]
	s_delay_alu instid0(VALU_DEP_1) | instskip(NEXT) | instid1(VALU_DEP_1)
	v_fma_f64 v[6:7], -v[4:5], v[4:5], v[0:1]
	v_fmac_f64_e32 v[4:5], v[6:7], v[2:3]
	v_cndmask_b32_e64 v2, 0, 0xffffff80, vcc_lo
	v_cmp_class_f64_e64 vcc_lo, v[0:1], 0x260
	s_delay_alu instid0(VALU_DEP_2) | instskip(NEXT) | instid1(VALU_DEP_1)
	v_ldexp_f64 v[2:3], v[4:5], v2
	v_dual_cndmask_b32 v1, v3, v1 :: v_dual_cndmask_b32 v0, v2, v0
	s_delay_alu instid0(VALU_DEP_1) | instskip(SKIP_2) | instid1(VALU_DEP_1)
	v_cmp_ge_f64_e64 vcc_lo, |v[0:1]|, 0.5
	v_fma_f64 v[4:5], |v[0:1]|, -0.5, 0.5
	v_mul_f64_e32 v[2:3], v[0:1], v[0:1]
	v_dual_cndmask_b32 v3, v3, v5 :: v_dual_cndmask_b32 v2, v2, v4
	s_delay_alu instid0(VALU_DEP_1) | instskip(NEXT) | instid1(VALU_DEP_1)
	v_fmaak_f64 v[6:7], s[0:1], v[2:3], 0xbf90a5a378a05eaf
	v_fmaak_f64 v[6:7], v[2:3], v[6:7], 0x3f94052137024d6a
	s_delay_alu instid0(VALU_DEP_1) | instskip(NEXT) | instid1(VALU_DEP_1)
	v_fmaak_f64 v[6:7], v[2:3], v[6:7], 0x3f7ab3a098a70509
	v_fmaak_f64 v[6:7], v[2:3], v[6:7], 0x3f88ed60a300c8d2
	;; [unrolled: 3-line block ×5, first 2 shown]
	s_delay_alu instid0(VALU_DEP_1) | instskip(NEXT) | instid1(VALU_DEP_1)
	v_fmaak_f64 v[6:7], v[2:3], v[6:7], 0x3fc5555555555380
	v_mul_f64_e32 v[2:3], v[2:3], v[6:7]
	s_delay_alu instid0(VALU_DEP_1)
	v_fma_f64 v[6:7], |v[0:1]|, v[2:3], |v[0:1]|
	s_and_saveexec_b32 s0, vcc_lo
	s_cbranch_execz .LBB0_27
; %bb.26:
	v_rsq_f64_e32 v[6:7], v[4:5]
	v_cmp_eq_f64_e32 vcc_lo, 0, v[4:5]
	s_mov_b64 s[4:5], 0x3fe921fb54442d18
	s_delay_alu instid0(TRANS32_DEP_1) | instskip(SKIP_1) | instid1(VALU_DEP_1)
	v_mul_f64_e32 v[10:11], v[4:5], v[6:7]
	v_mul_f64_e32 v[6:7], 0.5, v[6:7]
	v_fma_f64 v[12:13], -v[6:7], v[10:11], 0.5
	s_delay_alu instid0(VALU_DEP_1) | instskip(SKIP_1) | instid1(VALU_DEP_2)
	v_fmac_f64_e32 v[10:11], v[10:11], v[12:13]
	v_fmac_f64_e32 v[6:7], v[6:7], v[12:13]
	v_fma_f64 v[12:13], -v[10:11], v[10:11], v[4:5]
	s_delay_alu instid0(VALU_DEP_1) | instskip(NEXT) | instid1(VALU_DEP_1)
	v_fmac_f64_e32 v[10:11], v[12:13], v[6:7]
	v_dual_cndmask_b32 v7, v11, v5 :: v_dual_cndmask_b32 v6, v10, v4
	s_delay_alu instid0(VALU_DEP_1) | instskip(SKIP_1) | instid1(VALU_DEP_2)
	v_add_f64_e32 v[10:11], v[6:7], v[6:7]
	v_mul_f64_e32 v[12:13], v[6:7], v[6:7]
	v_rcp_f64_e32 v[14:15], v[10:11]
	s_delay_alu instid0(VALU_DEP_1) | instskip(SKIP_1) | instid1(VALU_DEP_2)
	v_add_f64_e64 v[16:17], v[4:5], -v[12:13]
	v_fma_f64 v[20:21], v[6:7], v[6:7], -v[12:13]
	v_add_f64_e64 v[4:5], v[4:5], -v[16:17]
	s_delay_alu instid0(TRANS32_DEP_1) | instskip(NEXT) | instid1(VALU_DEP_2)
	v_fma_f64 v[18:19], -v[10:11], v[14:15], 1.0
	v_add_f64_e64 v[4:5], v[4:5], -v[12:13]
	s_delay_alu instid0(VALU_DEP_2) | instskip(NEXT) | instid1(VALU_DEP_2)
	v_fmac_f64_e32 v[14:15], v[18:19], v[14:15]
	v_add_f64_e64 v[4:5], v[4:5], -v[20:21]
	s_delay_alu instid0(VALU_DEP_2) | instskip(NEXT) | instid1(VALU_DEP_2)
	v_fma_f64 v[12:13], -v[10:11], v[14:15], 1.0
	v_add_f64_e32 v[4:5], v[16:17], v[4:5]
	s_delay_alu instid0(VALU_DEP_2) | instskip(NEXT) | instid1(VALU_DEP_1)
	v_fmac_f64_e32 v[14:15], v[12:13], v[14:15]
	v_mul_f64_e32 v[12:13], v[4:5], v[14:15]
	s_delay_alu instid0(VALU_DEP_1) | instskip(NEXT) | instid1(VALU_DEP_1)
	v_fma_f64 v[4:5], -v[10:11], v[12:13], v[4:5]
	v_fmac_f64_e32 v[12:13], v[4:5], v[14:15]
	s_delay_alu instid0(VALU_DEP_1) | instskip(NEXT) | instid1(VALU_DEP_2)
	v_cndmask_b32_e64 v5, v13, 0, vcc_lo
	v_cndmask_b32_e64 v4, v12, 0, vcc_lo
	v_cmp_neq_f64_e64 vcc_lo, |v[0:1]|, 1.0
	s_delay_alu instid0(VALU_DEP_2) | instskip(NEXT) | instid1(VALU_DEP_1)
	v_add_f64_e32 v[10:11], v[6:7], v[4:5]
	v_add_f64_e64 v[6:7], v[10:11], -v[6:7]
	v_mul_f64_e32 v[12:13], v[2:3], v[10:11]
	s_delay_alu instid0(VALU_DEP_2) | instskip(NEXT) | instid1(VALU_DEP_2)
	v_add_f64_e64 v[4:5], v[4:5], -v[6:7]
	v_fma_f64 v[6:7], v[10:11], v[2:3], -v[12:13]
	s_delay_alu instid0(VALU_DEP_1) | instskip(NEXT) | instid1(VALU_DEP_1)
	v_fmac_f64_e32 v[6:7], v[4:5], v[2:3]
	v_add_f64_e32 v[2:3], v[12:13], v[6:7]
	s_delay_alu instid0(VALU_DEP_1) | instskip(SKIP_1) | instid1(VALU_DEP_2)
	v_add_f64_e32 v[14:15], v[10:11], v[2:3]
	v_add_f64_e64 v[12:13], v[2:3], -v[12:13]
	v_add_f64_e64 v[10:11], v[14:15], -v[10:11]
	s_delay_alu instid0(VALU_DEP_2) | instskip(NEXT) | instid1(VALU_DEP_2)
	v_add_f64_e64 v[6:7], v[6:7], -v[12:13]
	v_add_f64_e64 v[2:3], v[2:3], -v[10:11]
	s_delay_alu instid0(VALU_DEP_2) | instskip(NEXT) | instid1(VALU_DEP_1)
	v_add_f64_e32 v[4:5], v[4:5], v[6:7]
	v_add_f64_e32 v[2:3], v[4:5], v[2:3]
	s_delay_alu instid0(VALU_DEP_1) | instskip(NEXT) | instid1(VALU_DEP_1)
	v_add_f64_e32 v[4:5], v[14:15], v[2:3]
	v_add_f64_e64 v[6:7], -v[4:5], s[4:5]
	v_add_f64_e64 v[12:13], v[4:5], -v[14:15]
	s_delay_alu instid0(VALU_DEP_2) | instskip(NEXT) | instid1(VALU_DEP_2)
	v_add_f64_e64 v[10:11], -v[6:7], s[4:5]
	v_add_f64_e64 v[2:3], v[12:13], -v[2:3]
	s_delay_alu instid0(VALU_DEP_2) | instskip(NEXT) | instid1(VALU_DEP_1)
	v_add_f64_e64 v[4:5], v[10:11], -v[4:5]
	v_add_f64_e32 v[4:5], 0x3c81a62633145c07, v[4:5]
	s_delay_alu instid0(VALU_DEP_1) | instskip(NEXT) | instid1(VALU_DEP_1)
	v_add_f64_e32 v[2:3], v[2:3], v[4:5]
	v_add_f64_e32 v[2:3], v[6:7], v[2:3]
	s_delay_alu instid0(VALU_DEP_1) | instskip(NEXT) | instid1(VALU_DEP_1)
	v_add_f64_e32 v[2:3], v[2:3], v[2:3]
	v_cndmask_b32_e32 v7, 0x3ff921fb, v3, vcc_lo
	s_delay_alu instid0(VALU_DEP_2)
	v_cndmask_b32_e32 v6, 0x54442d18, v2, vcc_lo
.LBB0_27:
	s_or_b32 exec_lo, exec_lo, s0
	s_delay_alu instid0(VALU_DEP_1) | instskip(SKIP_2) | instid1(VALU_DEP_2)
	v_bfi_b32 v7, 0x7fffffff, v7, v1
	s_wait_kmcnt 0x0
	v_lshl_add_u64 v[2:3], v[8:9], 3, s[2:3]
	v_mul_f64_e32 v[0:1], 0x40c8e300, v[6:7]
	global_store_b64 v[2:3], v[0:1], off
.LBB0_28:
	s_sendmsg sendmsg(MSG_DEALLOC_VGPRS)
	s_endpgm
	.section	.rodata,"a",@progbits
	.p2align	6, 0x0
	.amdhsa_kernel _Z26compute_haversine_distancePK15HIP_vector_typeIdLj4EEPdi
		.amdhsa_group_segment_fixed_size 0
		.amdhsa_private_segment_fixed_size 0
		.amdhsa_kernarg_size 280
		.amdhsa_user_sgpr_count 2
		.amdhsa_user_sgpr_dispatch_ptr 0
		.amdhsa_user_sgpr_queue_ptr 0
		.amdhsa_user_sgpr_kernarg_segment_ptr 1
		.amdhsa_user_sgpr_dispatch_id 0
		.amdhsa_user_sgpr_kernarg_preload_length 0
		.amdhsa_user_sgpr_kernarg_preload_offset 0
		.amdhsa_user_sgpr_private_segment_size 0
		.amdhsa_wavefront_size32 1
		.amdhsa_uses_dynamic_stack 0
		.amdhsa_enable_private_segment 0
		.amdhsa_system_sgpr_workgroup_id_x 1
		.amdhsa_system_sgpr_workgroup_id_y 0
		.amdhsa_system_sgpr_workgroup_id_z 0
		.amdhsa_system_sgpr_workgroup_info 0
		.amdhsa_system_vgpr_workitem_id 0
		.amdhsa_next_free_vgpr 68
		.amdhsa_next_free_sgpr 7
		.amdhsa_named_barrier_count 0
		.amdhsa_reserve_vcc 1
		.amdhsa_float_round_mode_32 0
		.amdhsa_float_round_mode_16_64 0
		.amdhsa_float_denorm_mode_32 3
		.amdhsa_float_denorm_mode_16_64 3
		.amdhsa_fp16_overflow 0
		.amdhsa_memory_ordered 1
		.amdhsa_forward_progress 1
		.amdhsa_inst_pref_size 66
		.amdhsa_round_robin_scheduling 0
		.amdhsa_exception_fp_ieee_invalid_op 0
		.amdhsa_exception_fp_denorm_src 0
		.amdhsa_exception_fp_ieee_div_zero 0
		.amdhsa_exception_fp_ieee_overflow 0
		.amdhsa_exception_fp_ieee_underflow 0
		.amdhsa_exception_fp_ieee_inexact 0
		.amdhsa_exception_int_div_zero 0
	.end_amdhsa_kernel
	.text
.Lfunc_end0:
	.size	_Z26compute_haversine_distancePK15HIP_vector_typeIdLj4EEPdi, .Lfunc_end0-_Z26compute_haversine_distancePK15HIP_vector_typeIdLj4EEPdi
                                        ; -- End function
	.set _Z26compute_haversine_distancePK15HIP_vector_typeIdLj4EEPdi.num_vgpr, 68
	.set _Z26compute_haversine_distancePK15HIP_vector_typeIdLj4EEPdi.num_agpr, 0
	.set _Z26compute_haversine_distancePK15HIP_vector_typeIdLj4EEPdi.numbered_sgpr, 7
	.set _Z26compute_haversine_distancePK15HIP_vector_typeIdLj4EEPdi.num_named_barrier, 0
	.set _Z26compute_haversine_distancePK15HIP_vector_typeIdLj4EEPdi.private_seg_size, 0
	.set _Z26compute_haversine_distancePK15HIP_vector_typeIdLj4EEPdi.uses_vcc, 1
	.set _Z26compute_haversine_distancePK15HIP_vector_typeIdLj4EEPdi.uses_flat_scratch, 0
	.set _Z26compute_haversine_distancePK15HIP_vector_typeIdLj4EEPdi.has_dyn_sized_stack, 0
	.set _Z26compute_haversine_distancePK15HIP_vector_typeIdLj4EEPdi.has_recursion, 0
	.set _Z26compute_haversine_distancePK15HIP_vector_typeIdLj4EEPdi.has_indirect_call, 0
	.section	.AMDGPU.csdata,"",@progbits
; Kernel info:
; codeLenInByte = 8336
; TotalNumSgprs: 9
; NumVgprs: 68
; ScratchSize: 0
; MemoryBound: 0
; FloatMode: 240
; IeeeMode: 1
; LDSByteSize: 0 bytes/workgroup (compile time only)
; SGPRBlocks: 0
; VGPRBlocks: 4
; NumSGPRsForWavesPerEU: 9
; NumVGPRsForWavesPerEU: 68
; NamedBarCnt: 0
; Occupancy: 12
; WaveLimiterHint : 0
; COMPUTE_PGM_RSRC2:SCRATCH_EN: 0
; COMPUTE_PGM_RSRC2:USER_SGPR: 2
; COMPUTE_PGM_RSRC2:TRAP_HANDLER: 0
; COMPUTE_PGM_RSRC2:TGID_X_EN: 1
; COMPUTE_PGM_RSRC2:TGID_Y_EN: 0
; COMPUTE_PGM_RSRC2:TGID_Z_EN: 0
; COMPUTE_PGM_RSRC2:TIDIG_COMP_CNT: 0
	.text
	.p2alignl 7, 3214868480
	.fill 96, 4, 3214868480
	.section	.AMDGPU.gpr_maximums,"",@progbits
	.set amdgpu.max_num_vgpr, 0
	.set amdgpu.max_num_agpr, 0
	.set amdgpu.max_num_sgpr, 0
	.text
	.type	__hip_cuid_b812374138b8b0bd,@object ; @__hip_cuid_b812374138b8b0bd
	.section	.bss,"aw",@nobits
	.globl	__hip_cuid_b812374138b8b0bd
__hip_cuid_b812374138b8b0bd:
	.byte	0                               ; 0x0
	.size	__hip_cuid_b812374138b8b0bd, 1

	.ident	"AMD clang version 22.0.0git (https://github.com/RadeonOpenCompute/llvm-project roc-7.2.4 26084 f58b06dce1f9c15707c5f808fd002e18c2accf7e)"
	.section	".note.GNU-stack","",@progbits
	.addrsig
	.addrsig_sym __hip_cuid_b812374138b8b0bd
	.amdgpu_metadata
---
amdhsa.kernels:
  - .args:
      - .actual_access:  read_only
        .address_space:  global
        .offset:         0
        .size:           8
        .value_kind:     global_buffer
      - .actual_access:  write_only
        .address_space:  global
        .offset:         8
        .size:           8
        .value_kind:     global_buffer
      - .offset:         16
        .size:           4
        .value_kind:     by_value
      - .offset:         24
        .size:           4
        .value_kind:     hidden_block_count_x
      - .offset:         28
        .size:           4
        .value_kind:     hidden_block_count_y
      - .offset:         32
        .size:           4
        .value_kind:     hidden_block_count_z
      - .offset:         36
        .size:           2
        .value_kind:     hidden_group_size_x
      - .offset:         38
        .size:           2
        .value_kind:     hidden_group_size_y
      - .offset:         40
        .size:           2
        .value_kind:     hidden_group_size_z
      - .offset:         42
        .size:           2
        .value_kind:     hidden_remainder_x
      - .offset:         44
        .size:           2
        .value_kind:     hidden_remainder_y
      - .offset:         46
        .size:           2
        .value_kind:     hidden_remainder_z
      - .offset:         64
        .size:           8
        .value_kind:     hidden_global_offset_x
      - .offset:         72
        .size:           8
        .value_kind:     hidden_global_offset_y
      - .offset:         80
        .size:           8
        .value_kind:     hidden_global_offset_z
      - .offset:         88
        .size:           2
        .value_kind:     hidden_grid_dims
    .group_segment_fixed_size: 0
    .kernarg_segment_align: 8
    .kernarg_segment_size: 280
    .language:       OpenCL C
    .language_version:
      - 2
      - 0
    .max_flat_workgroup_size: 1024
    .name:           _Z26compute_haversine_distancePK15HIP_vector_typeIdLj4EEPdi
    .private_segment_fixed_size: 0
    .sgpr_count:     9
    .sgpr_spill_count: 0
    .symbol:         _Z26compute_haversine_distancePK15HIP_vector_typeIdLj4EEPdi.kd
    .uniform_work_group_size: 1
    .uses_dynamic_stack: false
    .vgpr_count:     68
    .vgpr_spill_count: 0
    .wavefront_size: 32
amdhsa.target:   amdgcn-amd-amdhsa--gfx1250
amdhsa.version:
  - 1
  - 2
...

	.end_amdgpu_metadata
